;; amdgpu-corpus repo=ROCm/rccl kind=compiled arch=gfx950 opt=O3
	.amdgcn_target "amdgcn-amd-amdhsa--gfx950"
	.amdhsa_code_object_version 6
	.text
	.protected	_Z10PingKernelPmS_S_    ; -- Begin function _Z10PingKernelPmS_S_
	.globl	_Z10PingKernelPmS_S_
	.p2align	8
	.type	_Z10PingKernelPmS_S_,@function
_Z10PingKernelPmS_S_:                   ; @_Z10PingKernelPmS_S_
; %bb.0:
	s_load_dwordx4 s[4:7], s[0:1], 0x0
	s_load_dwordx2 s[2:3], s[0:1], 0x10
	s_mov_b32 s0, 1
	s_mov_b32 s1, 0
	v_mov_b32_e32 v0, 0
.LBB0_1:                                ; =>This Loop Header: Depth=1
                                        ;     Child Loop BB0_2 Depth 2
                                        ;     Child Loop BB0_4 Depth 2
	;; [unrolled: 1-line block ×1000, first 2 shown]
	v_mov_b64_e32 v[2:3], s[0:1]
	s_waitcnt lgkmcnt(0)
	global_store_dwordx2 v0, v[2:3], s[6:7] sc0 sc1
.LBB0_2:                                ;   Parent Loop BB0_1 Depth=1
                                        ; =>  This Inner Loop Header: Depth=2
	global_load_dwordx2 v[2:3], v0, s[4:5] sc0 sc1
	s_waitcnt vmcnt(0)
	v_cmp_ne_u64_e32 vcc, s[0:1], v[2:3]
	s_cbranch_vccnz .LBB0_2
; %bb.3:                                ;   in Loop: Header=BB0_1 Depth=1
	s_add_i32 s8, s0, 1
	s_mov_b32 s9, s1
	v_mov_b64_e32 v[2:3], s[8:9]
	global_store_dwordx2 v0, v[2:3], s[6:7] sc0 sc1
.LBB0_4:                                ;   Parent Loop BB0_1 Depth=1
                                        ; =>  This Inner Loop Header: Depth=2
	global_load_dwordx2 v[2:3], v0, s[4:5] sc0 sc1
	s_waitcnt vmcnt(0)
	v_cmp_ne_u64_e32 vcc, s[8:9], v[2:3]
	s_cbranch_vccnz .LBB0_4
; %bb.5:                                ;   in Loop: Header=BB0_1 Depth=1
	s_add_i32 s8, s0, 2
	s_mov_b32 s9, s1
	v_mov_b64_e32 v[2:3], s[8:9]
	;; [unrolled: 11-line block ×4, first 2 shown]
	global_store_dwordx2 v0, v[2:3], s[6:7] sc0 sc1
.LBB0_10:                               ;   Parent Loop BB0_1 Depth=1
                                        ; =>  This Inner Loop Header: Depth=2
	global_load_dwordx2 v[2:3], v0, s[4:5] sc0 sc1
	s_waitcnt vmcnt(0)
	v_cmp_ne_u64_e32 vcc, s[8:9], v[2:3]
	s_cbranch_vccnz .LBB0_10
; %bb.11:                               ;   in Loop: Header=BB0_1 Depth=1
	s_add_i32 s8, s0, 5
	s_mov_b32 s9, s1
	v_mov_b64_e32 v[2:3], s[8:9]
	global_store_dwordx2 v0, v[2:3], s[6:7] sc0 sc1
.LBB0_12:                               ;   Parent Loop BB0_1 Depth=1
                                        ; =>  This Inner Loop Header: Depth=2
	global_load_dwordx2 v[2:3], v0, s[4:5] sc0 sc1
	s_waitcnt vmcnt(0)
	v_cmp_ne_u64_e32 vcc, s[8:9], v[2:3]
	s_cbranch_vccnz .LBB0_12
; %bb.13:                               ;   in Loop: Header=BB0_1 Depth=1
	s_add_i32 s8, s0, 6
	s_mov_b32 s9, s1
	v_mov_b64_e32 v[2:3], s[8:9]
	;; [unrolled: 11-line block ×45, first 2 shown]
	global_store_dwordx2 v0, v[2:3], s[6:7] sc0 sc1
.LBB0_100:                              ;   Parent Loop BB0_1 Depth=1
                                        ; =>  This Inner Loop Header: Depth=2
	global_load_dwordx2 v[2:3], v0, s[4:5] sc0 sc1
	s_waitcnt vmcnt(0)
	v_cmp_ne_u64_e32 vcc, s[8:9], v[2:3]
	s_cbranch_vccnz .LBB0_100
; %bb.101:                              ;   in Loop: Header=BB0_1 Depth=1
	s_add_i32 s8, s0, 50
	s_mov_b32 s9, s1
	v_mov_b64_e32 v[2:3], s[8:9]
	global_store_dwordx2 v0, v[2:3], s[6:7] sc0 sc1
.LBB0_102:                              ;   Parent Loop BB0_1 Depth=1
                                        ; =>  This Inner Loop Header: Depth=2
	global_load_dwordx2 v[2:3], v0, s[4:5] sc0 sc1
	s_waitcnt vmcnt(0)
	v_cmp_ne_u64_e32 vcc, s[8:9], v[2:3]
	s_cbranch_vccnz .LBB0_102
; %bb.103:                              ;   in Loop: Header=BB0_1 Depth=1
	s_add_i32 s8, s0, 51
	s_mov_b32 s9, s1
	v_mov_b64_e32 v[2:3], s[8:9]
	global_store_dwordx2 v0, v[2:3], s[6:7] sc0 sc1
.LBB0_104:                              ;   Parent Loop BB0_1 Depth=1
                                        ; =>  This Inner Loop Header: Depth=2
	global_load_dwordx2 v[2:3], v0, s[4:5] sc0 sc1
	s_waitcnt vmcnt(0)
	v_cmp_ne_u64_e32 vcc, s[8:9], v[2:3]
	s_cbranch_vccnz .LBB0_104
; %bb.105:                              ;   in Loop: Header=BB0_1 Depth=1
	s_add_i32 s8, s0, 52
	s_mov_b32 s9, s1
	v_mov_b64_e32 v[2:3], s[8:9]
	global_store_dwordx2 v0, v[2:3], s[6:7] sc0 sc1
.LBB0_106:                              ;   Parent Loop BB0_1 Depth=1
                                        ; =>  This Inner Loop Header: Depth=2
	global_load_dwordx2 v[2:3], v0, s[4:5] sc0 sc1
	s_waitcnt vmcnt(0)
	v_cmp_ne_u64_e32 vcc, s[8:9], v[2:3]
	s_cbranch_vccnz .LBB0_106
; %bb.107:                              ;   in Loop: Header=BB0_1 Depth=1
	s_add_i32 s8, s0, 53
	s_mov_b32 s9, s1
	v_mov_b64_e32 v[2:3], s[8:9]
	global_store_dwordx2 v0, v[2:3], s[6:7] sc0 sc1
.LBB0_108:                              ;   Parent Loop BB0_1 Depth=1
                                        ; =>  This Inner Loop Header: Depth=2
	global_load_dwordx2 v[2:3], v0, s[4:5] sc0 sc1
	s_waitcnt vmcnt(0)
	v_cmp_ne_u64_e32 vcc, s[8:9], v[2:3]
	s_cbranch_vccnz .LBB0_108
; %bb.109:                              ;   in Loop: Header=BB0_1 Depth=1
	s_add_i32 s8, s0, 54
	s_mov_b32 s9, s1
	v_mov_b64_e32 v[2:3], s[8:9]
	global_store_dwordx2 v0, v[2:3], s[6:7] sc0 sc1
.LBB0_110:                              ;   Parent Loop BB0_1 Depth=1
                                        ; =>  This Inner Loop Header: Depth=2
	global_load_dwordx2 v[2:3], v0, s[4:5] sc0 sc1
	s_waitcnt vmcnt(0)
	v_cmp_ne_u64_e32 vcc, s[8:9], v[2:3]
	s_cbranch_vccnz .LBB0_110
; %bb.111:                              ;   in Loop: Header=BB0_1 Depth=1
	s_add_i32 s8, s0, 55
	s_mov_b32 s9, s1
	v_mov_b64_e32 v[2:3], s[8:9]
	global_store_dwordx2 v0, v[2:3], s[6:7] sc0 sc1
.LBB0_112:                              ;   Parent Loop BB0_1 Depth=1
                                        ; =>  This Inner Loop Header: Depth=2
	global_load_dwordx2 v[2:3], v0, s[4:5] sc0 sc1
	s_waitcnt vmcnt(0)
	v_cmp_ne_u64_e32 vcc, s[8:9], v[2:3]
	s_cbranch_vccnz .LBB0_112
; %bb.113:                              ;   in Loop: Header=BB0_1 Depth=1
	s_add_i32 s8, s0, 56
	s_mov_b32 s9, s1
	v_mov_b64_e32 v[2:3], s[8:9]
	global_store_dwordx2 v0, v[2:3], s[6:7] sc0 sc1
.LBB0_114:                              ;   Parent Loop BB0_1 Depth=1
                                        ; =>  This Inner Loop Header: Depth=2
	global_load_dwordx2 v[2:3], v0, s[4:5] sc0 sc1
	s_waitcnt vmcnt(0)
	v_cmp_ne_u64_e32 vcc, s[8:9], v[2:3]
	s_cbranch_vccnz .LBB0_114
; %bb.115:                              ;   in Loop: Header=BB0_1 Depth=1
	s_add_i32 s8, s0, 57
	s_mov_b32 s9, s1
	v_mov_b64_e32 v[2:3], s[8:9]
	global_store_dwordx2 v0, v[2:3], s[6:7] sc0 sc1
.LBB0_116:                              ;   Parent Loop BB0_1 Depth=1
                                        ; =>  This Inner Loop Header: Depth=2
	global_load_dwordx2 v[2:3], v0, s[4:5] sc0 sc1
	s_waitcnt vmcnt(0)
	v_cmp_ne_u64_e32 vcc, s[8:9], v[2:3]
	s_cbranch_vccnz .LBB0_116
; %bb.117:                              ;   in Loop: Header=BB0_1 Depth=1
	s_add_i32 s8, s0, 58
	s_mov_b32 s9, s1
	v_mov_b64_e32 v[2:3], s[8:9]
	global_store_dwordx2 v0, v[2:3], s[6:7] sc0 sc1
.LBB0_118:                              ;   Parent Loop BB0_1 Depth=1
                                        ; =>  This Inner Loop Header: Depth=2
	global_load_dwordx2 v[2:3], v0, s[4:5] sc0 sc1
	s_waitcnt vmcnt(0)
	v_cmp_ne_u64_e32 vcc, s[8:9], v[2:3]
	s_cbranch_vccnz .LBB0_118
; %bb.119:                              ;   in Loop: Header=BB0_1 Depth=1
	s_add_i32 s8, s0, 59
	s_mov_b32 s9, s1
	v_mov_b64_e32 v[2:3], s[8:9]
	global_store_dwordx2 v0, v[2:3], s[6:7] sc0 sc1
.LBB0_120:                              ;   Parent Loop BB0_1 Depth=1
                                        ; =>  This Inner Loop Header: Depth=2
	global_load_dwordx2 v[2:3], v0, s[4:5] sc0 sc1
	s_waitcnt vmcnt(0)
	v_cmp_ne_u64_e32 vcc, s[8:9], v[2:3]
	s_cbranch_vccnz .LBB0_120
; %bb.121:                              ;   in Loop: Header=BB0_1 Depth=1
	s_add_i32 s8, s0, 60
	s_mov_b32 s9, s1
	v_mov_b64_e32 v[2:3], s[8:9]
	global_store_dwordx2 v0, v[2:3], s[6:7] sc0 sc1
.LBB0_122:                              ;   Parent Loop BB0_1 Depth=1
                                        ; =>  This Inner Loop Header: Depth=2
	global_load_dwordx2 v[2:3], v0, s[4:5] sc0 sc1
	s_waitcnt vmcnt(0)
	v_cmp_ne_u64_e32 vcc, s[8:9], v[2:3]
	s_cbranch_vccnz .LBB0_122
; %bb.123:                              ;   in Loop: Header=BB0_1 Depth=1
	s_add_i32 s8, s0, 61
	s_mov_b32 s9, s1
	v_mov_b64_e32 v[2:3], s[8:9]
	global_store_dwordx2 v0, v[2:3], s[6:7] sc0 sc1
.LBB0_124:                              ;   Parent Loop BB0_1 Depth=1
                                        ; =>  This Inner Loop Header: Depth=2
	global_load_dwordx2 v[2:3], v0, s[4:5] sc0 sc1
	s_waitcnt vmcnt(0)
	v_cmp_ne_u64_e32 vcc, s[8:9], v[2:3]
	s_cbranch_vccnz .LBB0_124
; %bb.125:                              ;   in Loop: Header=BB0_1 Depth=1
	s_add_i32 s8, s0, 62
	s_mov_b32 s9, s1
	v_mov_b64_e32 v[2:3], s[8:9]
	global_store_dwordx2 v0, v[2:3], s[6:7] sc0 sc1
.LBB0_126:                              ;   Parent Loop BB0_1 Depth=1
                                        ; =>  This Inner Loop Header: Depth=2
	global_load_dwordx2 v[2:3], v0, s[4:5] sc0 sc1
	s_waitcnt vmcnt(0)
	v_cmp_ne_u64_e32 vcc, s[8:9], v[2:3]
	s_cbranch_vccnz .LBB0_126
; %bb.127:                              ;   in Loop: Header=BB0_1 Depth=1
	s_add_i32 s8, s0, 63
	s_mov_b32 s9, s1
	v_mov_b64_e32 v[2:3], s[8:9]
	global_store_dwordx2 v0, v[2:3], s[6:7] sc0 sc1
.LBB0_128:                              ;   Parent Loop BB0_1 Depth=1
                                        ; =>  This Inner Loop Header: Depth=2
	global_load_dwordx2 v[2:3], v0, s[4:5] sc0 sc1
	s_waitcnt vmcnt(0)
	v_cmp_ne_u64_e32 vcc, s[8:9], v[2:3]
	s_cbranch_vccnz .LBB0_128
; %bb.129:                              ;   in Loop: Header=BB0_1 Depth=1
	s_add_i32 s8, s0, 64
	s_mov_b32 s9, s1
	v_mov_b64_e32 v[2:3], s[8:9]
	global_store_dwordx2 v0, v[2:3], s[6:7] sc0 sc1
.LBB0_130:                              ;   Parent Loop BB0_1 Depth=1
                                        ; =>  This Inner Loop Header: Depth=2
	global_load_dwordx2 v[2:3], v0, s[4:5] sc0 sc1
	s_waitcnt vmcnt(0)
	v_cmp_ne_u64_e32 vcc, s[8:9], v[2:3]
	s_cbranch_vccnz .LBB0_130
; %bb.131:                              ;   in Loop: Header=BB0_1 Depth=1
	s_add_i32 s8, s0, 0x41
	s_mov_b32 s9, s1
	v_mov_b64_e32 v[2:3], s[8:9]
	global_store_dwordx2 v0, v[2:3], s[6:7] sc0 sc1
.LBB0_132:                              ;   Parent Loop BB0_1 Depth=1
                                        ; =>  This Inner Loop Header: Depth=2
	global_load_dwordx2 v[2:3], v0, s[4:5] sc0 sc1
	s_waitcnt vmcnt(0)
	v_cmp_ne_u64_e32 vcc, s[8:9], v[2:3]
	s_cbranch_vccnz .LBB0_132
; %bb.133:                              ;   in Loop: Header=BB0_1 Depth=1
	s_add_i32 s8, s0, 0x42
	s_mov_b32 s9, s1
	v_mov_b64_e32 v[2:3], s[8:9]
	global_store_dwordx2 v0, v[2:3], s[6:7] sc0 sc1
.LBB0_134:                              ;   Parent Loop BB0_1 Depth=1
                                        ; =>  This Inner Loop Header: Depth=2
	global_load_dwordx2 v[2:3], v0, s[4:5] sc0 sc1
	s_waitcnt vmcnt(0)
	v_cmp_ne_u64_e32 vcc, s[8:9], v[2:3]
	s_cbranch_vccnz .LBB0_134
; %bb.135:                              ;   in Loop: Header=BB0_1 Depth=1
	s_add_i32 s8, s0, 0x43
	s_mov_b32 s9, s1
	v_mov_b64_e32 v[2:3], s[8:9]
	global_store_dwordx2 v0, v[2:3], s[6:7] sc0 sc1
.LBB0_136:                              ;   Parent Loop BB0_1 Depth=1
                                        ; =>  This Inner Loop Header: Depth=2
	global_load_dwordx2 v[2:3], v0, s[4:5] sc0 sc1
	s_waitcnt vmcnt(0)
	v_cmp_ne_u64_e32 vcc, s[8:9], v[2:3]
	s_cbranch_vccnz .LBB0_136
; %bb.137:                              ;   in Loop: Header=BB0_1 Depth=1
	s_add_i32 s8, s0, 0x44
	s_mov_b32 s9, s1
	v_mov_b64_e32 v[2:3], s[8:9]
	global_store_dwordx2 v0, v[2:3], s[6:7] sc0 sc1
.LBB0_138:                              ;   Parent Loop BB0_1 Depth=1
                                        ; =>  This Inner Loop Header: Depth=2
	global_load_dwordx2 v[2:3], v0, s[4:5] sc0 sc1
	s_waitcnt vmcnt(0)
	v_cmp_ne_u64_e32 vcc, s[8:9], v[2:3]
	s_cbranch_vccnz .LBB0_138
; %bb.139:                              ;   in Loop: Header=BB0_1 Depth=1
	s_add_i32 s8, s0, 0x45
	s_mov_b32 s9, s1
	v_mov_b64_e32 v[2:3], s[8:9]
	global_store_dwordx2 v0, v[2:3], s[6:7] sc0 sc1
.LBB0_140:                              ;   Parent Loop BB0_1 Depth=1
                                        ; =>  This Inner Loop Header: Depth=2
	global_load_dwordx2 v[2:3], v0, s[4:5] sc0 sc1
	s_waitcnt vmcnt(0)
	v_cmp_ne_u64_e32 vcc, s[8:9], v[2:3]
	s_cbranch_vccnz .LBB0_140
; %bb.141:                              ;   in Loop: Header=BB0_1 Depth=1
	s_add_i32 s8, s0, 0x46
	s_mov_b32 s9, s1
	v_mov_b64_e32 v[2:3], s[8:9]
	global_store_dwordx2 v0, v[2:3], s[6:7] sc0 sc1
.LBB0_142:                              ;   Parent Loop BB0_1 Depth=1
                                        ; =>  This Inner Loop Header: Depth=2
	global_load_dwordx2 v[2:3], v0, s[4:5] sc0 sc1
	s_waitcnt vmcnt(0)
	v_cmp_ne_u64_e32 vcc, s[8:9], v[2:3]
	s_cbranch_vccnz .LBB0_142
; %bb.143:                              ;   in Loop: Header=BB0_1 Depth=1
	s_add_i32 s8, s0, 0x47
	s_mov_b32 s9, s1
	v_mov_b64_e32 v[2:3], s[8:9]
	global_store_dwordx2 v0, v[2:3], s[6:7] sc0 sc1
.LBB0_144:                              ;   Parent Loop BB0_1 Depth=1
                                        ; =>  This Inner Loop Header: Depth=2
	global_load_dwordx2 v[2:3], v0, s[4:5] sc0 sc1
	s_waitcnt vmcnt(0)
	v_cmp_ne_u64_e32 vcc, s[8:9], v[2:3]
	s_cbranch_vccnz .LBB0_144
; %bb.145:                              ;   in Loop: Header=BB0_1 Depth=1
	s_add_i32 s8, s0, 0x48
	s_mov_b32 s9, s1
	v_mov_b64_e32 v[2:3], s[8:9]
	global_store_dwordx2 v0, v[2:3], s[6:7] sc0 sc1
.LBB0_146:                              ;   Parent Loop BB0_1 Depth=1
                                        ; =>  This Inner Loop Header: Depth=2
	global_load_dwordx2 v[2:3], v0, s[4:5] sc0 sc1
	s_waitcnt vmcnt(0)
	v_cmp_ne_u64_e32 vcc, s[8:9], v[2:3]
	s_cbranch_vccnz .LBB0_146
; %bb.147:                              ;   in Loop: Header=BB0_1 Depth=1
	s_add_i32 s8, s0, 0x49
	s_mov_b32 s9, s1
	v_mov_b64_e32 v[2:3], s[8:9]
	global_store_dwordx2 v0, v[2:3], s[6:7] sc0 sc1
.LBB0_148:                              ;   Parent Loop BB0_1 Depth=1
                                        ; =>  This Inner Loop Header: Depth=2
	global_load_dwordx2 v[2:3], v0, s[4:5] sc0 sc1
	s_waitcnt vmcnt(0)
	v_cmp_ne_u64_e32 vcc, s[8:9], v[2:3]
	s_cbranch_vccnz .LBB0_148
; %bb.149:                              ;   in Loop: Header=BB0_1 Depth=1
	s_add_i32 s8, s0, 0x4a
	s_mov_b32 s9, s1
	v_mov_b64_e32 v[2:3], s[8:9]
	global_store_dwordx2 v0, v[2:3], s[6:7] sc0 sc1
.LBB0_150:                              ;   Parent Loop BB0_1 Depth=1
                                        ; =>  This Inner Loop Header: Depth=2
	global_load_dwordx2 v[2:3], v0, s[4:5] sc0 sc1
	s_waitcnt vmcnt(0)
	v_cmp_ne_u64_e32 vcc, s[8:9], v[2:3]
	s_cbranch_vccnz .LBB0_150
; %bb.151:                              ;   in Loop: Header=BB0_1 Depth=1
	s_add_i32 s8, s0, 0x4b
	s_mov_b32 s9, s1
	v_mov_b64_e32 v[2:3], s[8:9]
	global_store_dwordx2 v0, v[2:3], s[6:7] sc0 sc1
.LBB0_152:                              ;   Parent Loop BB0_1 Depth=1
                                        ; =>  This Inner Loop Header: Depth=2
	global_load_dwordx2 v[2:3], v0, s[4:5] sc0 sc1
	s_waitcnt vmcnt(0)
	v_cmp_ne_u64_e32 vcc, s[8:9], v[2:3]
	s_cbranch_vccnz .LBB0_152
; %bb.153:                              ;   in Loop: Header=BB0_1 Depth=1
	s_add_i32 s8, s0, 0x4c
	s_mov_b32 s9, s1
	v_mov_b64_e32 v[2:3], s[8:9]
	global_store_dwordx2 v0, v[2:3], s[6:7] sc0 sc1
.LBB0_154:                              ;   Parent Loop BB0_1 Depth=1
                                        ; =>  This Inner Loop Header: Depth=2
	global_load_dwordx2 v[2:3], v0, s[4:5] sc0 sc1
	s_waitcnt vmcnt(0)
	v_cmp_ne_u64_e32 vcc, s[8:9], v[2:3]
	s_cbranch_vccnz .LBB0_154
; %bb.155:                              ;   in Loop: Header=BB0_1 Depth=1
	s_add_i32 s8, s0, 0x4d
	s_mov_b32 s9, s1
	v_mov_b64_e32 v[2:3], s[8:9]
	global_store_dwordx2 v0, v[2:3], s[6:7] sc0 sc1
.LBB0_156:                              ;   Parent Loop BB0_1 Depth=1
                                        ; =>  This Inner Loop Header: Depth=2
	global_load_dwordx2 v[2:3], v0, s[4:5] sc0 sc1
	s_waitcnt vmcnt(0)
	v_cmp_ne_u64_e32 vcc, s[8:9], v[2:3]
	s_cbranch_vccnz .LBB0_156
; %bb.157:                              ;   in Loop: Header=BB0_1 Depth=1
	s_add_i32 s8, s0, 0x4e
	s_mov_b32 s9, s1
	v_mov_b64_e32 v[2:3], s[8:9]
	global_store_dwordx2 v0, v[2:3], s[6:7] sc0 sc1
.LBB0_158:                              ;   Parent Loop BB0_1 Depth=1
                                        ; =>  This Inner Loop Header: Depth=2
	global_load_dwordx2 v[2:3], v0, s[4:5] sc0 sc1
	s_waitcnt vmcnt(0)
	v_cmp_ne_u64_e32 vcc, s[8:9], v[2:3]
	s_cbranch_vccnz .LBB0_158
; %bb.159:                              ;   in Loop: Header=BB0_1 Depth=1
	s_add_i32 s8, s0, 0x4f
	s_mov_b32 s9, s1
	v_mov_b64_e32 v[2:3], s[8:9]
	global_store_dwordx2 v0, v[2:3], s[6:7] sc0 sc1
.LBB0_160:                              ;   Parent Loop BB0_1 Depth=1
                                        ; =>  This Inner Loop Header: Depth=2
	global_load_dwordx2 v[2:3], v0, s[4:5] sc0 sc1
	s_waitcnt vmcnt(0)
	v_cmp_ne_u64_e32 vcc, s[8:9], v[2:3]
	s_cbranch_vccnz .LBB0_160
; %bb.161:                              ;   in Loop: Header=BB0_1 Depth=1
	s_add_i32 s8, s0, 0x50
	s_mov_b32 s9, s1
	v_mov_b64_e32 v[2:3], s[8:9]
	global_store_dwordx2 v0, v[2:3], s[6:7] sc0 sc1
.LBB0_162:                              ;   Parent Loop BB0_1 Depth=1
                                        ; =>  This Inner Loop Header: Depth=2
	global_load_dwordx2 v[2:3], v0, s[4:5] sc0 sc1
	s_waitcnt vmcnt(0)
	v_cmp_ne_u64_e32 vcc, s[8:9], v[2:3]
	s_cbranch_vccnz .LBB0_162
; %bb.163:                              ;   in Loop: Header=BB0_1 Depth=1
	s_add_i32 s8, s0, 0x51
	s_mov_b32 s9, s1
	v_mov_b64_e32 v[2:3], s[8:9]
	global_store_dwordx2 v0, v[2:3], s[6:7] sc0 sc1
.LBB0_164:                              ;   Parent Loop BB0_1 Depth=1
                                        ; =>  This Inner Loop Header: Depth=2
	global_load_dwordx2 v[2:3], v0, s[4:5] sc0 sc1
	s_waitcnt vmcnt(0)
	v_cmp_ne_u64_e32 vcc, s[8:9], v[2:3]
	s_cbranch_vccnz .LBB0_164
; %bb.165:                              ;   in Loop: Header=BB0_1 Depth=1
	s_add_i32 s8, s0, 0x52
	s_mov_b32 s9, s1
	v_mov_b64_e32 v[2:3], s[8:9]
	global_store_dwordx2 v0, v[2:3], s[6:7] sc0 sc1
.LBB0_166:                              ;   Parent Loop BB0_1 Depth=1
                                        ; =>  This Inner Loop Header: Depth=2
	global_load_dwordx2 v[2:3], v0, s[4:5] sc0 sc1
	s_waitcnt vmcnt(0)
	v_cmp_ne_u64_e32 vcc, s[8:9], v[2:3]
	s_cbranch_vccnz .LBB0_166
; %bb.167:                              ;   in Loop: Header=BB0_1 Depth=1
	s_add_i32 s8, s0, 0x53
	s_mov_b32 s9, s1
	v_mov_b64_e32 v[2:3], s[8:9]
	global_store_dwordx2 v0, v[2:3], s[6:7] sc0 sc1
.LBB0_168:                              ;   Parent Loop BB0_1 Depth=1
                                        ; =>  This Inner Loop Header: Depth=2
	global_load_dwordx2 v[2:3], v0, s[4:5] sc0 sc1
	s_waitcnt vmcnt(0)
	v_cmp_ne_u64_e32 vcc, s[8:9], v[2:3]
	s_cbranch_vccnz .LBB0_168
; %bb.169:                              ;   in Loop: Header=BB0_1 Depth=1
	s_add_i32 s8, s0, 0x54
	s_mov_b32 s9, s1
	v_mov_b64_e32 v[2:3], s[8:9]
	global_store_dwordx2 v0, v[2:3], s[6:7] sc0 sc1
.LBB0_170:                              ;   Parent Loop BB0_1 Depth=1
                                        ; =>  This Inner Loop Header: Depth=2
	global_load_dwordx2 v[2:3], v0, s[4:5] sc0 sc1
	s_waitcnt vmcnt(0)
	v_cmp_ne_u64_e32 vcc, s[8:9], v[2:3]
	s_cbranch_vccnz .LBB0_170
; %bb.171:                              ;   in Loop: Header=BB0_1 Depth=1
	s_add_i32 s8, s0, 0x55
	s_mov_b32 s9, s1
	v_mov_b64_e32 v[2:3], s[8:9]
	global_store_dwordx2 v0, v[2:3], s[6:7] sc0 sc1
.LBB0_172:                              ;   Parent Loop BB0_1 Depth=1
                                        ; =>  This Inner Loop Header: Depth=2
	global_load_dwordx2 v[2:3], v0, s[4:5] sc0 sc1
	s_waitcnt vmcnt(0)
	v_cmp_ne_u64_e32 vcc, s[8:9], v[2:3]
	s_cbranch_vccnz .LBB0_172
; %bb.173:                              ;   in Loop: Header=BB0_1 Depth=1
	s_add_i32 s8, s0, 0x56
	s_mov_b32 s9, s1
	v_mov_b64_e32 v[2:3], s[8:9]
	global_store_dwordx2 v0, v[2:3], s[6:7] sc0 sc1
.LBB0_174:                              ;   Parent Loop BB0_1 Depth=1
                                        ; =>  This Inner Loop Header: Depth=2
	global_load_dwordx2 v[2:3], v0, s[4:5] sc0 sc1
	s_waitcnt vmcnt(0)
	v_cmp_ne_u64_e32 vcc, s[8:9], v[2:3]
	s_cbranch_vccnz .LBB0_174
; %bb.175:                              ;   in Loop: Header=BB0_1 Depth=1
	s_add_i32 s8, s0, 0x57
	s_mov_b32 s9, s1
	v_mov_b64_e32 v[2:3], s[8:9]
	global_store_dwordx2 v0, v[2:3], s[6:7] sc0 sc1
.LBB0_176:                              ;   Parent Loop BB0_1 Depth=1
                                        ; =>  This Inner Loop Header: Depth=2
	global_load_dwordx2 v[2:3], v0, s[4:5] sc0 sc1
	s_waitcnt vmcnt(0)
	v_cmp_ne_u64_e32 vcc, s[8:9], v[2:3]
	s_cbranch_vccnz .LBB0_176
; %bb.177:                              ;   in Loop: Header=BB0_1 Depth=1
	s_add_i32 s8, s0, 0x58
	s_mov_b32 s9, s1
	v_mov_b64_e32 v[2:3], s[8:9]
	global_store_dwordx2 v0, v[2:3], s[6:7] sc0 sc1
.LBB0_178:                              ;   Parent Loop BB0_1 Depth=1
                                        ; =>  This Inner Loop Header: Depth=2
	global_load_dwordx2 v[2:3], v0, s[4:5] sc0 sc1
	s_waitcnt vmcnt(0)
	v_cmp_ne_u64_e32 vcc, s[8:9], v[2:3]
	s_cbranch_vccnz .LBB0_178
; %bb.179:                              ;   in Loop: Header=BB0_1 Depth=1
	s_add_i32 s8, s0, 0x59
	s_mov_b32 s9, s1
	v_mov_b64_e32 v[2:3], s[8:9]
	global_store_dwordx2 v0, v[2:3], s[6:7] sc0 sc1
.LBB0_180:                              ;   Parent Loop BB0_1 Depth=1
                                        ; =>  This Inner Loop Header: Depth=2
	global_load_dwordx2 v[2:3], v0, s[4:5] sc0 sc1
	s_waitcnt vmcnt(0)
	v_cmp_ne_u64_e32 vcc, s[8:9], v[2:3]
	s_cbranch_vccnz .LBB0_180
; %bb.181:                              ;   in Loop: Header=BB0_1 Depth=1
	s_add_i32 s8, s0, 0x5a
	s_mov_b32 s9, s1
	v_mov_b64_e32 v[2:3], s[8:9]
	global_store_dwordx2 v0, v[2:3], s[6:7] sc0 sc1
.LBB0_182:                              ;   Parent Loop BB0_1 Depth=1
                                        ; =>  This Inner Loop Header: Depth=2
	global_load_dwordx2 v[2:3], v0, s[4:5] sc0 sc1
	s_waitcnt vmcnt(0)
	v_cmp_ne_u64_e32 vcc, s[8:9], v[2:3]
	s_cbranch_vccnz .LBB0_182
; %bb.183:                              ;   in Loop: Header=BB0_1 Depth=1
	s_add_i32 s8, s0, 0x5b
	s_mov_b32 s9, s1
	v_mov_b64_e32 v[2:3], s[8:9]
	global_store_dwordx2 v0, v[2:3], s[6:7] sc0 sc1
.LBB0_184:                              ;   Parent Loop BB0_1 Depth=1
                                        ; =>  This Inner Loop Header: Depth=2
	global_load_dwordx2 v[2:3], v0, s[4:5] sc0 sc1
	s_waitcnt vmcnt(0)
	v_cmp_ne_u64_e32 vcc, s[8:9], v[2:3]
	s_cbranch_vccnz .LBB0_184
; %bb.185:                              ;   in Loop: Header=BB0_1 Depth=1
	s_add_i32 s8, s0, 0x5c
	s_mov_b32 s9, s1
	v_mov_b64_e32 v[2:3], s[8:9]
	global_store_dwordx2 v0, v[2:3], s[6:7] sc0 sc1
.LBB0_186:                              ;   Parent Loop BB0_1 Depth=1
                                        ; =>  This Inner Loop Header: Depth=2
	global_load_dwordx2 v[2:3], v0, s[4:5] sc0 sc1
	s_waitcnt vmcnt(0)
	v_cmp_ne_u64_e32 vcc, s[8:9], v[2:3]
	s_cbranch_vccnz .LBB0_186
; %bb.187:                              ;   in Loop: Header=BB0_1 Depth=1
	s_add_i32 s8, s0, 0x5d
	s_mov_b32 s9, s1
	v_mov_b64_e32 v[2:3], s[8:9]
	global_store_dwordx2 v0, v[2:3], s[6:7] sc0 sc1
.LBB0_188:                              ;   Parent Loop BB0_1 Depth=1
                                        ; =>  This Inner Loop Header: Depth=2
	global_load_dwordx2 v[2:3], v0, s[4:5] sc0 sc1
	s_waitcnt vmcnt(0)
	v_cmp_ne_u64_e32 vcc, s[8:9], v[2:3]
	s_cbranch_vccnz .LBB0_188
; %bb.189:                              ;   in Loop: Header=BB0_1 Depth=1
	s_add_i32 s8, s0, 0x5e
	s_mov_b32 s9, s1
	v_mov_b64_e32 v[2:3], s[8:9]
	global_store_dwordx2 v0, v[2:3], s[6:7] sc0 sc1
.LBB0_190:                              ;   Parent Loop BB0_1 Depth=1
                                        ; =>  This Inner Loop Header: Depth=2
	global_load_dwordx2 v[2:3], v0, s[4:5] sc0 sc1
	s_waitcnt vmcnt(0)
	v_cmp_ne_u64_e32 vcc, s[8:9], v[2:3]
	s_cbranch_vccnz .LBB0_190
; %bb.191:                              ;   in Loop: Header=BB0_1 Depth=1
	s_add_i32 s8, s0, 0x5f
	s_mov_b32 s9, s1
	v_mov_b64_e32 v[2:3], s[8:9]
	global_store_dwordx2 v0, v[2:3], s[6:7] sc0 sc1
.LBB0_192:                              ;   Parent Loop BB0_1 Depth=1
                                        ; =>  This Inner Loop Header: Depth=2
	global_load_dwordx2 v[2:3], v0, s[4:5] sc0 sc1
	s_waitcnt vmcnt(0)
	v_cmp_ne_u64_e32 vcc, s[8:9], v[2:3]
	s_cbranch_vccnz .LBB0_192
; %bb.193:                              ;   in Loop: Header=BB0_1 Depth=1
	s_add_i32 s8, s0, 0x60
	s_mov_b32 s9, s1
	v_mov_b64_e32 v[2:3], s[8:9]
	global_store_dwordx2 v0, v[2:3], s[6:7] sc0 sc1
.LBB0_194:                              ;   Parent Loop BB0_1 Depth=1
                                        ; =>  This Inner Loop Header: Depth=2
	global_load_dwordx2 v[2:3], v0, s[4:5] sc0 sc1
	s_waitcnt vmcnt(0)
	v_cmp_ne_u64_e32 vcc, s[8:9], v[2:3]
	s_cbranch_vccnz .LBB0_194
; %bb.195:                              ;   in Loop: Header=BB0_1 Depth=1
	s_add_i32 s8, s0, 0x61
	s_mov_b32 s9, s1
	v_mov_b64_e32 v[2:3], s[8:9]
	global_store_dwordx2 v0, v[2:3], s[6:7] sc0 sc1
.LBB0_196:                              ;   Parent Loop BB0_1 Depth=1
                                        ; =>  This Inner Loop Header: Depth=2
	global_load_dwordx2 v[2:3], v0, s[4:5] sc0 sc1
	s_waitcnt vmcnt(0)
	v_cmp_ne_u64_e32 vcc, s[8:9], v[2:3]
	s_cbranch_vccnz .LBB0_196
; %bb.197:                              ;   in Loop: Header=BB0_1 Depth=1
	s_add_i32 s8, s0, 0x62
	s_mov_b32 s9, s1
	v_mov_b64_e32 v[2:3], s[8:9]
	global_store_dwordx2 v0, v[2:3], s[6:7] sc0 sc1
.LBB0_198:                              ;   Parent Loop BB0_1 Depth=1
                                        ; =>  This Inner Loop Header: Depth=2
	global_load_dwordx2 v[2:3], v0, s[4:5] sc0 sc1
	s_waitcnt vmcnt(0)
	v_cmp_ne_u64_e32 vcc, s[8:9], v[2:3]
	s_cbranch_vccnz .LBB0_198
; %bb.199:                              ;   in Loop: Header=BB0_1 Depth=1
	s_add_i32 s8, s0, 0x63
	s_mov_b32 s9, s1
	v_mov_b64_e32 v[2:3], s[8:9]
	global_store_dwordx2 v0, v[2:3], s[6:7] sc0 sc1
.LBB0_200:                              ;   Parent Loop BB0_1 Depth=1
                                        ; =>  This Inner Loop Header: Depth=2
	global_load_dwordx2 v[2:3], v0, s[4:5] sc0 sc1
	s_waitcnt vmcnt(0)
	v_cmp_ne_u64_e32 vcc, s[8:9], v[2:3]
	s_cbranch_vccnz .LBB0_200
; %bb.201:                              ;   in Loop: Header=BB0_1 Depth=1
	s_add_i32 s8, s0, 0x64
	s_mov_b32 s9, s1
	v_mov_b64_e32 v[2:3], s[8:9]
	global_store_dwordx2 v0, v[2:3], s[6:7] sc0 sc1
.LBB0_202:                              ;   Parent Loop BB0_1 Depth=1
                                        ; =>  This Inner Loop Header: Depth=2
	global_load_dwordx2 v[2:3], v0, s[4:5] sc0 sc1
	s_waitcnt vmcnt(0)
	v_cmp_ne_u64_e32 vcc, s[8:9], v[2:3]
	s_cbranch_vccnz .LBB0_202
; %bb.203:                              ;   in Loop: Header=BB0_1 Depth=1
	s_add_i32 s8, s0, 0x65
	s_mov_b32 s9, s1
	v_mov_b64_e32 v[2:3], s[8:9]
	global_store_dwordx2 v0, v[2:3], s[6:7] sc0 sc1
.LBB0_204:                              ;   Parent Loop BB0_1 Depth=1
                                        ; =>  This Inner Loop Header: Depth=2
	global_load_dwordx2 v[2:3], v0, s[4:5] sc0 sc1
	s_waitcnt vmcnt(0)
	v_cmp_ne_u64_e32 vcc, s[8:9], v[2:3]
	s_cbranch_vccnz .LBB0_204
; %bb.205:                              ;   in Loop: Header=BB0_1 Depth=1
	s_add_i32 s8, s0, 0x66
	s_mov_b32 s9, s1
	v_mov_b64_e32 v[2:3], s[8:9]
	global_store_dwordx2 v0, v[2:3], s[6:7] sc0 sc1
.LBB0_206:                              ;   Parent Loop BB0_1 Depth=1
                                        ; =>  This Inner Loop Header: Depth=2
	global_load_dwordx2 v[2:3], v0, s[4:5] sc0 sc1
	s_waitcnt vmcnt(0)
	v_cmp_ne_u64_e32 vcc, s[8:9], v[2:3]
	s_cbranch_vccnz .LBB0_206
; %bb.207:                              ;   in Loop: Header=BB0_1 Depth=1
	s_add_i32 s8, s0, 0x67
	s_mov_b32 s9, s1
	v_mov_b64_e32 v[2:3], s[8:9]
	global_store_dwordx2 v0, v[2:3], s[6:7] sc0 sc1
.LBB0_208:                              ;   Parent Loop BB0_1 Depth=1
                                        ; =>  This Inner Loop Header: Depth=2
	global_load_dwordx2 v[2:3], v0, s[4:5] sc0 sc1
	s_waitcnt vmcnt(0)
	v_cmp_ne_u64_e32 vcc, s[8:9], v[2:3]
	s_cbranch_vccnz .LBB0_208
; %bb.209:                              ;   in Loop: Header=BB0_1 Depth=1
	s_add_i32 s8, s0, 0x68
	s_mov_b32 s9, s1
	v_mov_b64_e32 v[2:3], s[8:9]
	global_store_dwordx2 v0, v[2:3], s[6:7] sc0 sc1
.LBB0_210:                              ;   Parent Loop BB0_1 Depth=1
                                        ; =>  This Inner Loop Header: Depth=2
	global_load_dwordx2 v[2:3], v0, s[4:5] sc0 sc1
	s_waitcnt vmcnt(0)
	v_cmp_ne_u64_e32 vcc, s[8:9], v[2:3]
	s_cbranch_vccnz .LBB0_210
; %bb.211:                              ;   in Loop: Header=BB0_1 Depth=1
	s_add_i32 s8, s0, 0x69
	s_mov_b32 s9, s1
	v_mov_b64_e32 v[2:3], s[8:9]
	global_store_dwordx2 v0, v[2:3], s[6:7] sc0 sc1
.LBB0_212:                              ;   Parent Loop BB0_1 Depth=1
                                        ; =>  This Inner Loop Header: Depth=2
	global_load_dwordx2 v[2:3], v0, s[4:5] sc0 sc1
	s_waitcnt vmcnt(0)
	v_cmp_ne_u64_e32 vcc, s[8:9], v[2:3]
	s_cbranch_vccnz .LBB0_212
; %bb.213:                              ;   in Loop: Header=BB0_1 Depth=1
	s_add_i32 s8, s0, 0x6a
	s_mov_b32 s9, s1
	v_mov_b64_e32 v[2:3], s[8:9]
	global_store_dwordx2 v0, v[2:3], s[6:7] sc0 sc1
.LBB0_214:                              ;   Parent Loop BB0_1 Depth=1
                                        ; =>  This Inner Loop Header: Depth=2
	global_load_dwordx2 v[2:3], v0, s[4:5] sc0 sc1
	s_waitcnt vmcnt(0)
	v_cmp_ne_u64_e32 vcc, s[8:9], v[2:3]
	s_cbranch_vccnz .LBB0_214
; %bb.215:                              ;   in Loop: Header=BB0_1 Depth=1
	s_add_i32 s8, s0, 0x6b
	s_mov_b32 s9, s1
	v_mov_b64_e32 v[2:3], s[8:9]
	global_store_dwordx2 v0, v[2:3], s[6:7] sc0 sc1
.LBB0_216:                              ;   Parent Loop BB0_1 Depth=1
                                        ; =>  This Inner Loop Header: Depth=2
	global_load_dwordx2 v[2:3], v0, s[4:5] sc0 sc1
	s_waitcnt vmcnt(0)
	v_cmp_ne_u64_e32 vcc, s[8:9], v[2:3]
	s_cbranch_vccnz .LBB0_216
; %bb.217:                              ;   in Loop: Header=BB0_1 Depth=1
	s_add_i32 s8, s0, 0x6c
	s_mov_b32 s9, s1
	v_mov_b64_e32 v[2:3], s[8:9]
	global_store_dwordx2 v0, v[2:3], s[6:7] sc0 sc1
.LBB0_218:                              ;   Parent Loop BB0_1 Depth=1
                                        ; =>  This Inner Loop Header: Depth=2
	global_load_dwordx2 v[2:3], v0, s[4:5] sc0 sc1
	s_waitcnt vmcnt(0)
	v_cmp_ne_u64_e32 vcc, s[8:9], v[2:3]
	s_cbranch_vccnz .LBB0_218
; %bb.219:                              ;   in Loop: Header=BB0_1 Depth=1
	s_add_i32 s8, s0, 0x6d
	s_mov_b32 s9, s1
	v_mov_b64_e32 v[2:3], s[8:9]
	global_store_dwordx2 v0, v[2:3], s[6:7] sc0 sc1
.LBB0_220:                              ;   Parent Loop BB0_1 Depth=1
                                        ; =>  This Inner Loop Header: Depth=2
	global_load_dwordx2 v[2:3], v0, s[4:5] sc0 sc1
	s_waitcnt vmcnt(0)
	v_cmp_ne_u64_e32 vcc, s[8:9], v[2:3]
	s_cbranch_vccnz .LBB0_220
; %bb.221:                              ;   in Loop: Header=BB0_1 Depth=1
	s_add_i32 s8, s0, 0x6e
	s_mov_b32 s9, s1
	v_mov_b64_e32 v[2:3], s[8:9]
	global_store_dwordx2 v0, v[2:3], s[6:7] sc0 sc1
.LBB0_222:                              ;   Parent Loop BB0_1 Depth=1
                                        ; =>  This Inner Loop Header: Depth=2
	global_load_dwordx2 v[2:3], v0, s[4:5] sc0 sc1
	s_waitcnt vmcnt(0)
	v_cmp_ne_u64_e32 vcc, s[8:9], v[2:3]
	s_cbranch_vccnz .LBB0_222
; %bb.223:                              ;   in Loop: Header=BB0_1 Depth=1
	s_add_i32 s8, s0, 0x6f
	s_mov_b32 s9, s1
	v_mov_b64_e32 v[2:3], s[8:9]
	global_store_dwordx2 v0, v[2:3], s[6:7] sc0 sc1
.LBB0_224:                              ;   Parent Loop BB0_1 Depth=1
                                        ; =>  This Inner Loop Header: Depth=2
	global_load_dwordx2 v[2:3], v0, s[4:5] sc0 sc1
	s_waitcnt vmcnt(0)
	v_cmp_ne_u64_e32 vcc, s[8:9], v[2:3]
	s_cbranch_vccnz .LBB0_224
; %bb.225:                              ;   in Loop: Header=BB0_1 Depth=1
	s_add_i32 s8, s0, 0x70
	s_mov_b32 s9, s1
	v_mov_b64_e32 v[2:3], s[8:9]
	global_store_dwordx2 v0, v[2:3], s[6:7] sc0 sc1
.LBB0_226:                              ;   Parent Loop BB0_1 Depth=1
                                        ; =>  This Inner Loop Header: Depth=2
	global_load_dwordx2 v[2:3], v0, s[4:5] sc0 sc1
	s_waitcnt vmcnt(0)
	v_cmp_ne_u64_e32 vcc, s[8:9], v[2:3]
	s_cbranch_vccnz .LBB0_226
; %bb.227:                              ;   in Loop: Header=BB0_1 Depth=1
	s_add_i32 s8, s0, 0x71
	s_mov_b32 s9, s1
	v_mov_b64_e32 v[2:3], s[8:9]
	global_store_dwordx2 v0, v[2:3], s[6:7] sc0 sc1
.LBB0_228:                              ;   Parent Loop BB0_1 Depth=1
                                        ; =>  This Inner Loop Header: Depth=2
	global_load_dwordx2 v[2:3], v0, s[4:5] sc0 sc1
	s_waitcnt vmcnt(0)
	v_cmp_ne_u64_e32 vcc, s[8:9], v[2:3]
	s_cbranch_vccnz .LBB0_228
; %bb.229:                              ;   in Loop: Header=BB0_1 Depth=1
	s_add_i32 s8, s0, 0x72
	s_mov_b32 s9, s1
	v_mov_b64_e32 v[2:3], s[8:9]
	global_store_dwordx2 v0, v[2:3], s[6:7] sc0 sc1
.LBB0_230:                              ;   Parent Loop BB0_1 Depth=1
                                        ; =>  This Inner Loop Header: Depth=2
	global_load_dwordx2 v[2:3], v0, s[4:5] sc0 sc1
	s_waitcnt vmcnt(0)
	v_cmp_ne_u64_e32 vcc, s[8:9], v[2:3]
	s_cbranch_vccnz .LBB0_230
; %bb.231:                              ;   in Loop: Header=BB0_1 Depth=1
	s_add_i32 s8, s0, 0x73
	s_mov_b32 s9, s1
	v_mov_b64_e32 v[2:3], s[8:9]
	global_store_dwordx2 v0, v[2:3], s[6:7] sc0 sc1
.LBB0_232:                              ;   Parent Loop BB0_1 Depth=1
                                        ; =>  This Inner Loop Header: Depth=2
	global_load_dwordx2 v[2:3], v0, s[4:5] sc0 sc1
	s_waitcnt vmcnt(0)
	v_cmp_ne_u64_e32 vcc, s[8:9], v[2:3]
	s_cbranch_vccnz .LBB0_232
; %bb.233:                              ;   in Loop: Header=BB0_1 Depth=1
	s_add_i32 s8, s0, 0x74
	s_mov_b32 s9, s1
	v_mov_b64_e32 v[2:3], s[8:9]
	global_store_dwordx2 v0, v[2:3], s[6:7] sc0 sc1
.LBB0_234:                              ;   Parent Loop BB0_1 Depth=1
                                        ; =>  This Inner Loop Header: Depth=2
	global_load_dwordx2 v[2:3], v0, s[4:5] sc0 sc1
	s_waitcnt vmcnt(0)
	v_cmp_ne_u64_e32 vcc, s[8:9], v[2:3]
	s_cbranch_vccnz .LBB0_234
; %bb.235:                              ;   in Loop: Header=BB0_1 Depth=1
	s_add_i32 s8, s0, 0x75
	s_mov_b32 s9, s1
	v_mov_b64_e32 v[2:3], s[8:9]
	global_store_dwordx2 v0, v[2:3], s[6:7] sc0 sc1
.LBB0_236:                              ;   Parent Loop BB0_1 Depth=1
                                        ; =>  This Inner Loop Header: Depth=2
	global_load_dwordx2 v[2:3], v0, s[4:5] sc0 sc1
	s_waitcnt vmcnt(0)
	v_cmp_ne_u64_e32 vcc, s[8:9], v[2:3]
	s_cbranch_vccnz .LBB0_236
; %bb.237:                              ;   in Loop: Header=BB0_1 Depth=1
	s_add_i32 s8, s0, 0x76
	s_mov_b32 s9, s1
	v_mov_b64_e32 v[2:3], s[8:9]
	global_store_dwordx2 v0, v[2:3], s[6:7] sc0 sc1
.LBB0_238:                              ;   Parent Loop BB0_1 Depth=1
                                        ; =>  This Inner Loop Header: Depth=2
	global_load_dwordx2 v[2:3], v0, s[4:5] sc0 sc1
	s_waitcnt vmcnt(0)
	v_cmp_ne_u64_e32 vcc, s[8:9], v[2:3]
	s_cbranch_vccnz .LBB0_238
; %bb.239:                              ;   in Loop: Header=BB0_1 Depth=1
	s_add_i32 s8, s0, 0x77
	s_mov_b32 s9, s1
	v_mov_b64_e32 v[2:3], s[8:9]
	global_store_dwordx2 v0, v[2:3], s[6:7] sc0 sc1
.LBB0_240:                              ;   Parent Loop BB0_1 Depth=1
                                        ; =>  This Inner Loop Header: Depth=2
	global_load_dwordx2 v[2:3], v0, s[4:5] sc0 sc1
	s_waitcnt vmcnt(0)
	v_cmp_ne_u64_e32 vcc, s[8:9], v[2:3]
	s_cbranch_vccnz .LBB0_240
; %bb.241:                              ;   in Loop: Header=BB0_1 Depth=1
	s_add_i32 s8, s0, 0x78
	s_mov_b32 s9, s1
	v_mov_b64_e32 v[2:3], s[8:9]
	global_store_dwordx2 v0, v[2:3], s[6:7] sc0 sc1
.LBB0_242:                              ;   Parent Loop BB0_1 Depth=1
                                        ; =>  This Inner Loop Header: Depth=2
	global_load_dwordx2 v[2:3], v0, s[4:5] sc0 sc1
	s_waitcnt vmcnt(0)
	v_cmp_ne_u64_e32 vcc, s[8:9], v[2:3]
	s_cbranch_vccnz .LBB0_242
; %bb.243:                              ;   in Loop: Header=BB0_1 Depth=1
	s_add_i32 s8, s0, 0x79
	s_mov_b32 s9, s1
	v_mov_b64_e32 v[2:3], s[8:9]
	global_store_dwordx2 v0, v[2:3], s[6:7] sc0 sc1
.LBB0_244:                              ;   Parent Loop BB0_1 Depth=1
                                        ; =>  This Inner Loop Header: Depth=2
	global_load_dwordx2 v[2:3], v0, s[4:5] sc0 sc1
	s_waitcnt vmcnt(0)
	v_cmp_ne_u64_e32 vcc, s[8:9], v[2:3]
	s_cbranch_vccnz .LBB0_244
; %bb.245:                              ;   in Loop: Header=BB0_1 Depth=1
	s_add_i32 s8, s0, 0x7a
	s_mov_b32 s9, s1
	v_mov_b64_e32 v[2:3], s[8:9]
	global_store_dwordx2 v0, v[2:3], s[6:7] sc0 sc1
.LBB0_246:                              ;   Parent Loop BB0_1 Depth=1
                                        ; =>  This Inner Loop Header: Depth=2
	global_load_dwordx2 v[2:3], v0, s[4:5] sc0 sc1
	s_waitcnt vmcnt(0)
	v_cmp_ne_u64_e32 vcc, s[8:9], v[2:3]
	s_cbranch_vccnz .LBB0_246
; %bb.247:                              ;   in Loop: Header=BB0_1 Depth=1
	s_add_i32 s8, s0, 0x7b
	s_mov_b32 s9, s1
	v_mov_b64_e32 v[2:3], s[8:9]
	global_store_dwordx2 v0, v[2:3], s[6:7] sc0 sc1
.LBB0_248:                              ;   Parent Loop BB0_1 Depth=1
                                        ; =>  This Inner Loop Header: Depth=2
	global_load_dwordx2 v[2:3], v0, s[4:5] sc0 sc1
	s_waitcnt vmcnt(0)
	v_cmp_ne_u64_e32 vcc, s[8:9], v[2:3]
	s_cbranch_vccnz .LBB0_248
; %bb.249:                              ;   in Loop: Header=BB0_1 Depth=1
	s_add_i32 s8, s0, 0x7c
	s_mov_b32 s9, s1
	v_mov_b64_e32 v[2:3], s[8:9]
	global_store_dwordx2 v0, v[2:3], s[6:7] sc0 sc1
.LBB0_250:                              ;   Parent Loop BB0_1 Depth=1
                                        ; =>  This Inner Loop Header: Depth=2
	global_load_dwordx2 v[2:3], v0, s[4:5] sc0 sc1
	s_waitcnt vmcnt(0)
	v_cmp_ne_u64_e32 vcc, s[8:9], v[2:3]
	s_cbranch_vccnz .LBB0_250
; %bb.251:                              ;   in Loop: Header=BB0_1 Depth=1
	s_add_i32 s8, s0, 0x7d
	s_mov_b32 s9, s1
	v_mov_b64_e32 v[2:3], s[8:9]
	global_store_dwordx2 v0, v[2:3], s[6:7] sc0 sc1
.LBB0_252:                              ;   Parent Loop BB0_1 Depth=1
                                        ; =>  This Inner Loop Header: Depth=2
	global_load_dwordx2 v[2:3], v0, s[4:5] sc0 sc1
	s_waitcnt vmcnt(0)
	v_cmp_ne_u64_e32 vcc, s[8:9], v[2:3]
	s_cbranch_vccnz .LBB0_252
; %bb.253:                              ;   in Loop: Header=BB0_1 Depth=1
	s_add_i32 s8, s0, 0x7e
	s_mov_b32 s9, s1
	v_mov_b64_e32 v[2:3], s[8:9]
	global_store_dwordx2 v0, v[2:3], s[6:7] sc0 sc1
.LBB0_254:                              ;   Parent Loop BB0_1 Depth=1
                                        ; =>  This Inner Loop Header: Depth=2
	global_load_dwordx2 v[2:3], v0, s[4:5] sc0 sc1
	s_waitcnt vmcnt(0)
	v_cmp_ne_u64_e32 vcc, s[8:9], v[2:3]
	s_cbranch_vccnz .LBB0_254
; %bb.255:                              ;   in Loop: Header=BB0_1 Depth=1
	s_add_i32 s8, s0, 0x7f
	s_mov_b32 s9, s1
	v_mov_b64_e32 v[2:3], s[8:9]
	global_store_dwordx2 v0, v[2:3], s[6:7] sc0 sc1
.LBB0_256:                              ;   Parent Loop BB0_1 Depth=1
                                        ; =>  This Inner Loop Header: Depth=2
	global_load_dwordx2 v[2:3], v0, s[4:5] sc0 sc1
	s_waitcnt vmcnt(0)
	v_cmp_ne_u64_e32 vcc, s[8:9], v[2:3]
	s_cbranch_vccnz .LBB0_256
; %bb.257:                              ;   in Loop: Header=BB0_1 Depth=1
	s_add_i32 s8, s0, 0x80
	s_mov_b32 s9, s1
	v_mov_b64_e32 v[2:3], s[8:9]
	global_store_dwordx2 v0, v[2:3], s[6:7] sc0 sc1
.LBB0_258:                              ;   Parent Loop BB0_1 Depth=1
                                        ; =>  This Inner Loop Header: Depth=2
	global_load_dwordx2 v[2:3], v0, s[4:5] sc0 sc1
	s_waitcnt vmcnt(0)
	v_cmp_ne_u64_e32 vcc, s[8:9], v[2:3]
	s_cbranch_vccnz .LBB0_258
; %bb.259:                              ;   in Loop: Header=BB0_1 Depth=1
	s_add_i32 s8, s0, 0x81
	s_mov_b32 s9, s1
	v_mov_b64_e32 v[2:3], s[8:9]
	global_store_dwordx2 v0, v[2:3], s[6:7] sc0 sc1
.LBB0_260:                              ;   Parent Loop BB0_1 Depth=1
                                        ; =>  This Inner Loop Header: Depth=2
	global_load_dwordx2 v[2:3], v0, s[4:5] sc0 sc1
	s_waitcnt vmcnt(0)
	v_cmp_ne_u64_e32 vcc, s[8:9], v[2:3]
	s_cbranch_vccnz .LBB0_260
; %bb.261:                              ;   in Loop: Header=BB0_1 Depth=1
	s_add_i32 s8, s0, 0x82
	s_mov_b32 s9, s1
	v_mov_b64_e32 v[2:3], s[8:9]
	global_store_dwordx2 v0, v[2:3], s[6:7] sc0 sc1
.LBB0_262:                              ;   Parent Loop BB0_1 Depth=1
                                        ; =>  This Inner Loop Header: Depth=2
	global_load_dwordx2 v[2:3], v0, s[4:5] sc0 sc1
	s_waitcnt vmcnt(0)
	v_cmp_ne_u64_e32 vcc, s[8:9], v[2:3]
	s_cbranch_vccnz .LBB0_262
; %bb.263:                              ;   in Loop: Header=BB0_1 Depth=1
	s_add_i32 s8, s0, 0x83
	s_mov_b32 s9, s1
	v_mov_b64_e32 v[2:3], s[8:9]
	global_store_dwordx2 v0, v[2:3], s[6:7] sc0 sc1
.LBB0_264:                              ;   Parent Loop BB0_1 Depth=1
                                        ; =>  This Inner Loop Header: Depth=2
	global_load_dwordx2 v[2:3], v0, s[4:5] sc0 sc1
	s_waitcnt vmcnt(0)
	v_cmp_ne_u64_e32 vcc, s[8:9], v[2:3]
	s_cbranch_vccnz .LBB0_264
; %bb.265:                              ;   in Loop: Header=BB0_1 Depth=1
	s_add_i32 s8, s0, 0x84
	s_mov_b32 s9, s1
	v_mov_b64_e32 v[2:3], s[8:9]
	global_store_dwordx2 v0, v[2:3], s[6:7] sc0 sc1
.LBB0_266:                              ;   Parent Loop BB0_1 Depth=1
                                        ; =>  This Inner Loop Header: Depth=2
	global_load_dwordx2 v[2:3], v0, s[4:5] sc0 sc1
	s_waitcnt vmcnt(0)
	v_cmp_ne_u64_e32 vcc, s[8:9], v[2:3]
	s_cbranch_vccnz .LBB0_266
; %bb.267:                              ;   in Loop: Header=BB0_1 Depth=1
	s_add_i32 s8, s0, 0x85
	s_mov_b32 s9, s1
	v_mov_b64_e32 v[2:3], s[8:9]
	global_store_dwordx2 v0, v[2:3], s[6:7] sc0 sc1
.LBB0_268:                              ;   Parent Loop BB0_1 Depth=1
                                        ; =>  This Inner Loop Header: Depth=2
	global_load_dwordx2 v[2:3], v0, s[4:5] sc0 sc1
	s_waitcnt vmcnt(0)
	v_cmp_ne_u64_e32 vcc, s[8:9], v[2:3]
	s_cbranch_vccnz .LBB0_268
; %bb.269:                              ;   in Loop: Header=BB0_1 Depth=1
	s_add_i32 s8, s0, 0x86
	s_mov_b32 s9, s1
	v_mov_b64_e32 v[2:3], s[8:9]
	global_store_dwordx2 v0, v[2:3], s[6:7] sc0 sc1
.LBB0_270:                              ;   Parent Loop BB0_1 Depth=1
                                        ; =>  This Inner Loop Header: Depth=2
	global_load_dwordx2 v[2:3], v0, s[4:5] sc0 sc1
	s_waitcnt vmcnt(0)
	v_cmp_ne_u64_e32 vcc, s[8:9], v[2:3]
	s_cbranch_vccnz .LBB0_270
; %bb.271:                              ;   in Loop: Header=BB0_1 Depth=1
	s_add_i32 s8, s0, 0x87
	s_mov_b32 s9, s1
	v_mov_b64_e32 v[2:3], s[8:9]
	global_store_dwordx2 v0, v[2:3], s[6:7] sc0 sc1
.LBB0_272:                              ;   Parent Loop BB0_1 Depth=1
                                        ; =>  This Inner Loop Header: Depth=2
	global_load_dwordx2 v[2:3], v0, s[4:5] sc0 sc1
	s_waitcnt vmcnt(0)
	v_cmp_ne_u64_e32 vcc, s[8:9], v[2:3]
	s_cbranch_vccnz .LBB0_272
; %bb.273:                              ;   in Loop: Header=BB0_1 Depth=1
	s_add_i32 s8, s0, 0x88
	s_mov_b32 s9, s1
	v_mov_b64_e32 v[2:3], s[8:9]
	global_store_dwordx2 v0, v[2:3], s[6:7] sc0 sc1
.LBB0_274:                              ;   Parent Loop BB0_1 Depth=1
                                        ; =>  This Inner Loop Header: Depth=2
	global_load_dwordx2 v[2:3], v0, s[4:5] sc0 sc1
	s_waitcnt vmcnt(0)
	v_cmp_ne_u64_e32 vcc, s[8:9], v[2:3]
	s_cbranch_vccnz .LBB0_274
; %bb.275:                              ;   in Loop: Header=BB0_1 Depth=1
	s_add_i32 s8, s0, 0x89
	s_mov_b32 s9, s1
	v_mov_b64_e32 v[2:3], s[8:9]
	global_store_dwordx2 v0, v[2:3], s[6:7] sc0 sc1
.LBB0_276:                              ;   Parent Loop BB0_1 Depth=1
                                        ; =>  This Inner Loop Header: Depth=2
	global_load_dwordx2 v[2:3], v0, s[4:5] sc0 sc1
	s_waitcnt vmcnt(0)
	v_cmp_ne_u64_e32 vcc, s[8:9], v[2:3]
	s_cbranch_vccnz .LBB0_276
; %bb.277:                              ;   in Loop: Header=BB0_1 Depth=1
	s_add_i32 s8, s0, 0x8a
	s_mov_b32 s9, s1
	v_mov_b64_e32 v[2:3], s[8:9]
	global_store_dwordx2 v0, v[2:3], s[6:7] sc0 sc1
.LBB0_278:                              ;   Parent Loop BB0_1 Depth=1
                                        ; =>  This Inner Loop Header: Depth=2
	global_load_dwordx2 v[2:3], v0, s[4:5] sc0 sc1
	s_waitcnt vmcnt(0)
	v_cmp_ne_u64_e32 vcc, s[8:9], v[2:3]
	s_cbranch_vccnz .LBB0_278
; %bb.279:                              ;   in Loop: Header=BB0_1 Depth=1
	s_add_i32 s8, s0, 0x8b
	s_mov_b32 s9, s1
	v_mov_b64_e32 v[2:3], s[8:9]
	global_store_dwordx2 v0, v[2:3], s[6:7] sc0 sc1
.LBB0_280:                              ;   Parent Loop BB0_1 Depth=1
                                        ; =>  This Inner Loop Header: Depth=2
	global_load_dwordx2 v[2:3], v0, s[4:5] sc0 sc1
	s_waitcnt vmcnt(0)
	v_cmp_ne_u64_e32 vcc, s[8:9], v[2:3]
	s_cbranch_vccnz .LBB0_280
; %bb.281:                              ;   in Loop: Header=BB0_1 Depth=1
	s_add_i32 s8, s0, 0x8c
	s_mov_b32 s9, s1
	v_mov_b64_e32 v[2:3], s[8:9]
	global_store_dwordx2 v0, v[2:3], s[6:7] sc0 sc1
.LBB0_282:                              ;   Parent Loop BB0_1 Depth=1
                                        ; =>  This Inner Loop Header: Depth=2
	global_load_dwordx2 v[2:3], v0, s[4:5] sc0 sc1
	s_waitcnt vmcnt(0)
	v_cmp_ne_u64_e32 vcc, s[8:9], v[2:3]
	s_cbranch_vccnz .LBB0_282
; %bb.283:                              ;   in Loop: Header=BB0_1 Depth=1
	s_add_i32 s8, s0, 0x8d
	s_mov_b32 s9, s1
	v_mov_b64_e32 v[2:3], s[8:9]
	global_store_dwordx2 v0, v[2:3], s[6:7] sc0 sc1
.LBB0_284:                              ;   Parent Loop BB0_1 Depth=1
                                        ; =>  This Inner Loop Header: Depth=2
	global_load_dwordx2 v[2:3], v0, s[4:5] sc0 sc1
	s_waitcnt vmcnt(0)
	v_cmp_ne_u64_e32 vcc, s[8:9], v[2:3]
	s_cbranch_vccnz .LBB0_284
; %bb.285:                              ;   in Loop: Header=BB0_1 Depth=1
	s_add_i32 s8, s0, 0x8e
	s_mov_b32 s9, s1
	v_mov_b64_e32 v[2:3], s[8:9]
	global_store_dwordx2 v0, v[2:3], s[6:7] sc0 sc1
.LBB0_286:                              ;   Parent Loop BB0_1 Depth=1
                                        ; =>  This Inner Loop Header: Depth=2
	global_load_dwordx2 v[2:3], v0, s[4:5] sc0 sc1
	s_waitcnt vmcnt(0)
	v_cmp_ne_u64_e32 vcc, s[8:9], v[2:3]
	s_cbranch_vccnz .LBB0_286
; %bb.287:                              ;   in Loop: Header=BB0_1 Depth=1
	s_add_i32 s8, s0, 0x8f
	s_mov_b32 s9, s1
	v_mov_b64_e32 v[2:3], s[8:9]
	global_store_dwordx2 v0, v[2:3], s[6:7] sc0 sc1
.LBB0_288:                              ;   Parent Loop BB0_1 Depth=1
                                        ; =>  This Inner Loop Header: Depth=2
	global_load_dwordx2 v[2:3], v0, s[4:5] sc0 sc1
	s_waitcnt vmcnt(0)
	v_cmp_ne_u64_e32 vcc, s[8:9], v[2:3]
	s_cbranch_vccnz .LBB0_288
; %bb.289:                              ;   in Loop: Header=BB0_1 Depth=1
	s_add_i32 s8, s0, 0x90
	s_mov_b32 s9, s1
	v_mov_b64_e32 v[2:3], s[8:9]
	global_store_dwordx2 v0, v[2:3], s[6:7] sc0 sc1
.LBB0_290:                              ;   Parent Loop BB0_1 Depth=1
                                        ; =>  This Inner Loop Header: Depth=2
	global_load_dwordx2 v[2:3], v0, s[4:5] sc0 sc1
	s_waitcnt vmcnt(0)
	v_cmp_ne_u64_e32 vcc, s[8:9], v[2:3]
	s_cbranch_vccnz .LBB0_290
; %bb.291:                              ;   in Loop: Header=BB0_1 Depth=1
	s_add_i32 s8, s0, 0x91
	s_mov_b32 s9, s1
	v_mov_b64_e32 v[2:3], s[8:9]
	global_store_dwordx2 v0, v[2:3], s[6:7] sc0 sc1
.LBB0_292:                              ;   Parent Loop BB0_1 Depth=1
                                        ; =>  This Inner Loop Header: Depth=2
	global_load_dwordx2 v[2:3], v0, s[4:5] sc0 sc1
	s_waitcnt vmcnt(0)
	v_cmp_ne_u64_e32 vcc, s[8:9], v[2:3]
	s_cbranch_vccnz .LBB0_292
; %bb.293:                              ;   in Loop: Header=BB0_1 Depth=1
	s_add_i32 s8, s0, 0x92
	s_mov_b32 s9, s1
	v_mov_b64_e32 v[2:3], s[8:9]
	global_store_dwordx2 v0, v[2:3], s[6:7] sc0 sc1
.LBB0_294:                              ;   Parent Loop BB0_1 Depth=1
                                        ; =>  This Inner Loop Header: Depth=2
	global_load_dwordx2 v[2:3], v0, s[4:5] sc0 sc1
	s_waitcnt vmcnt(0)
	v_cmp_ne_u64_e32 vcc, s[8:9], v[2:3]
	s_cbranch_vccnz .LBB0_294
; %bb.295:                              ;   in Loop: Header=BB0_1 Depth=1
	s_add_i32 s8, s0, 0x93
	s_mov_b32 s9, s1
	v_mov_b64_e32 v[2:3], s[8:9]
	global_store_dwordx2 v0, v[2:3], s[6:7] sc0 sc1
.LBB0_296:                              ;   Parent Loop BB0_1 Depth=1
                                        ; =>  This Inner Loop Header: Depth=2
	global_load_dwordx2 v[2:3], v0, s[4:5] sc0 sc1
	s_waitcnt vmcnt(0)
	v_cmp_ne_u64_e32 vcc, s[8:9], v[2:3]
	s_cbranch_vccnz .LBB0_296
; %bb.297:                              ;   in Loop: Header=BB0_1 Depth=1
	s_add_i32 s8, s0, 0x94
	s_mov_b32 s9, s1
	v_mov_b64_e32 v[2:3], s[8:9]
	global_store_dwordx2 v0, v[2:3], s[6:7] sc0 sc1
.LBB0_298:                              ;   Parent Loop BB0_1 Depth=1
                                        ; =>  This Inner Loop Header: Depth=2
	global_load_dwordx2 v[2:3], v0, s[4:5] sc0 sc1
	s_waitcnt vmcnt(0)
	v_cmp_ne_u64_e32 vcc, s[8:9], v[2:3]
	s_cbranch_vccnz .LBB0_298
; %bb.299:                              ;   in Loop: Header=BB0_1 Depth=1
	s_add_i32 s8, s0, 0x95
	s_mov_b32 s9, s1
	v_mov_b64_e32 v[2:3], s[8:9]
	global_store_dwordx2 v0, v[2:3], s[6:7] sc0 sc1
.LBB0_300:                              ;   Parent Loop BB0_1 Depth=1
                                        ; =>  This Inner Loop Header: Depth=2
	global_load_dwordx2 v[2:3], v0, s[4:5] sc0 sc1
	s_waitcnt vmcnt(0)
	v_cmp_ne_u64_e32 vcc, s[8:9], v[2:3]
	s_cbranch_vccnz .LBB0_300
; %bb.301:                              ;   in Loop: Header=BB0_1 Depth=1
	s_add_i32 s8, s0, 0x96
	s_mov_b32 s9, s1
	v_mov_b64_e32 v[2:3], s[8:9]
	global_store_dwordx2 v0, v[2:3], s[6:7] sc0 sc1
.LBB0_302:                              ;   Parent Loop BB0_1 Depth=1
                                        ; =>  This Inner Loop Header: Depth=2
	global_load_dwordx2 v[2:3], v0, s[4:5] sc0 sc1
	s_waitcnt vmcnt(0)
	v_cmp_ne_u64_e32 vcc, s[8:9], v[2:3]
	s_cbranch_vccnz .LBB0_302
; %bb.303:                              ;   in Loop: Header=BB0_1 Depth=1
	s_add_i32 s8, s0, 0x97
	s_mov_b32 s9, s1
	v_mov_b64_e32 v[2:3], s[8:9]
	global_store_dwordx2 v0, v[2:3], s[6:7] sc0 sc1
.LBB0_304:                              ;   Parent Loop BB0_1 Depth=1
                                        ; =>  This Inner Loop Header: Depth=2
	global_load_dwordx2 v[2:3], v0, s[4:5] sc0 sc1
	s_waitcnt vmcnt(0)
	v_cmp_ne_u64_e32 vcc, s[8:9], v[2:3]
	s_cbranch_vccnz .LBB0_304
; %bb.305:                              ;   in Loop: Header=BB0_1 Depth=1
	s_add_i32 s8, s0, 0x98
	s_mov_b32 s9, s1
	v_mov_b64_e32 v[2:3], s[8:9]
	global_store_dwordx2 v0, v[2:3], s[6:7] sc0 sc1
.LBB0_306:                              ;   Parent Loop BB0_1 Depth=1
                                        ; =>  This Inner Loop Header: Depth=2
	global_load_dwordx2 v[2:3], v0, s[4:5] sc0 sc1
	s_waitcnt vmcnt(0)
	v_cmp_ne_u64_e32 vcc, s[8:9], v[2:3]
	s_cbranch_vccnz .LBB0_306
; %bb.307:                              ;   in Loop: Header=BB0_1 Depth=1
	s_add_i32 s8, s0, 0x99
	s_mov_b32 s9, s1
	v_mov_b64_e32 v[2:3], s[8:9]
	global_store_dwordx2 v0, v[2:3], s[6:7] sc0 sc1
.LBB0_308:                              ;   Parent Loop BB0_1 Depth=1
                                        ; =>  This Inner Loop Header: Depth=2
	global_load_dwordx2 v[2:3], v0, s[4:5] sc0 sc1
	s_waitcnt vmcnt(0)
	v_cmp_ne_u64_e32 vcc, s[8:9], v[2:3]
	s_cbranch_vccnz .LBB0_308
; %bb.309:                              ;   in Loop: Header=BB0_1 Depth=1
	s_add_i32 s8, s0, 0x9a
	s_mov_b32 s9, s1
	v_mov_b64_e32 v[2:3], s[8:9]
	global_store_dwordx2 v0, v[2:3], s[6:7] sc0 sc1
.LBB0_310:                              ;   Parent Loop BB0_1 Depth=1
                                        ; =>  This Inner Loop Header: Depth=2
	global_load_dwordx2 v[2:3], v0, s[4:5] sc0 sc1
	s_waitcnt vmcnt(0)
	v_cmp_ne_u64_e32 vcc, s[8:9], v[2:3]
	s_cbranch_vccnz .LBB0_310
; %bb.311:                              ;   in Loop: Header=BB0_1 Depth=1
	s_add_i32 s8, s0, 0x9b
	s_mov_b32 s9, s1
	v_mov_b64_e32 v[2:3], s[8:9]
	global_store_dwordx2 v0, v[2:3], s[6:7] sc0 sc1
.LBB0_312:                              ;   Parent Loop BB0_1 Depth=1
                                        ; =>  This Inner Loop Header: Depth=2
	global_load_dwordx2 v[2:3], v0, s[4:5] sc0 sc1
	s_waitcnt vmcnt(0)
	v_cmp_ne_u64_e32 vcc, s[8:9], v[2:3]
	s_cbranch_vccnz .LBB0_312
; %bb.313:                              ;   in Loop: Header=BB0_1 Depth=1
	s_add_i32 s8, s0, 0x9c
	s_mov_b32 s9, s1
	v_mov_b64_e32 v[2:3], s[8:9]
	global_store_dwordx2 v0, v[2:3], s[6:7] sc0 sc1
.LBB0_314:                              ;   Parent Loop BB0_1 Depth=1
                                        ; =>  This Inner Loop Header: Depth=2
	global_load_dwordx2 v[2:3], v0, s[4:5] sc0 sc1
	s_waitcnt vmcnt(0)
	v_cmp_ne_u64_e32 vcc, s[8:9], v[2:3]
	s_cbranch_vccnz .LBB0_314
; %bb.315:                              ;   in Loop: Header=BB0_1 Depth=1
	s_add_i32 s8, s0, 0x9d
	s_mov_b32 s9, s1
	v_mov_b64_e32 v[2:3], s[8:9]
	global_store_dwordx2 v0, v[2:3], s[6:7] sc0 sc1
.LBB0_316:                              ;   Parent Loop BB0_1 Depth=1
                                        ; =>  This Inner Loop Header: Depth=2
	global_load_dwordx2 v[2:3], v0, s[4:5] sc0 sc1
	s_waitcnt vmcnt(0)
	v_cmp_ne_u64_e32 vcc, s[8:9], v[2:3]
	s_cbranch_vccnz .LBB0_316
; %bb.317:                              ;   in Loop: Header=BB0_1 Depth=1
	s_add_i32 s8, s0, 0x9e
	s_mov_b32 s9, s1
	v_mov_b64_e32 v[2:3], s[8:9]
	global_store_dwordx2 v0, v[2:3], s[6:7] sc0 sc1
.LBB0_318:                              ;   Parent Loop BB0_1 Depth=1
                                        ; =>  This Inner Loop Header: Depth=2
	global_load_dwordx2 v[2:3], v0, s[4:5] sc0 sc1
	s_waitcnt vmcnt(0)
	v_cmp_ne_u64_e32 vcc, s[8:9], v[2:3]
	s_cbranch_vccnz .LBB0_318
; %bb.319:                              ;   in Loop: Header=BB0_1 Depth=1
	s_add_i32 s8, s0, 0x9f
	s_mov_b32 s9, s1
	v_mov_b64_e32 v[2:3], s[8:9]
	global_store_dwordx2 v0, v[2:3], s[6:7] sc0 sc1
.LBB0_320:                              ;   Parent Loop BB0_1 Depth=1
                                        ; =>  This Inner Loop Header: Depth=2
	global_load_dwordx2 v[2:3], v0, s[4:5] sc0 sc1
	s_waitcnt vmcnt(0)
	v_cmp_ne_u64_e32 vcc, s[8:9], v[2:3]
	s_cbranch_vccnz .LBB0_320
; %bb.321:                              ;   in Loop: Header=BB0_1 Depth=1
	s_add_i32 s8, s0, 0xa0
	s_mov_b32 s9, s1
	v_mov_b64_e32 v[2:3], s[8:9]
	global_store_dwordx2 v0, v[2:3], s[6:7] sc0 sc1
.LBB0_322:                              ;   Parent Loop BB0_1 Depth=1
                                        ; =>  This Inner Loop Header: Depth=2
	global_load_dwordx2 v[2:3], v0, s[4:5] sc0 sc1
	s_waitcnt vmcnt(0)
	v_cmp_ne_u64_e32 vcc, s[8:9], v[2:3]
	s_cbranch_vccnz .LBB0_322
; %bb.323:                              ;   in Loop: Header=BB0_1 Depth=1
	s_add_i32 s8, s0, 0xa1
	s_mov_b32 s9, s1
	v_mov_b64_e32 v[2:3], s[8:9]
	global_store_dwordx2 v0, v[2:3], s[6:7] sc0 sc1
.LBB0_324:                              ;   Parent Loop BB0_1 Depth=1
                                        ; =>  This Inner Loop Header: Depth=2
	global_load_dwordx2 v[2:3], v0, s[4:5] sc0 sc1
	s_waitcnt vmcnt(0)
	v_cmp_ne_u64_e32 vcc, s[8:9], v[2:3]
	s_cbranch_vccnz .LBB0_324
; %bb.325:                              ;   in Loop: Header=BB0_1 Depth=1
	s_add_i32 s8, s0, 0xa2
	s_mov_b32 s9, s1
	v_mov_b64_e32 v[2:3], s[8:9]
	global_store_dwordx2 v0, v[2:3], s[6:7] sc0 sc1
.LBB0_326:                              ;   Parent Loop BB0_1 Depth=1
                                        ; =>  This Inner Loop Header: Depth=2
	global_load_dwordx2 v[2:3], v0, s[4:5] sc0 sc1
	s_waitcnt vmcnt(0)
	v_cmp_ne_u64_e32 vcc, s[8:9], v[2:3]
	s_cbranch_vccnz .LBB0_326
; %bb.327:                              ;   in Loop: Header=BB0_1 Depth=1
	s_add_i32 s8, s0, 0xa3
	s_mov_b32 s9, s1
	v_mov_b64_e32 v[2:3], s[8:9]
	global_store_dwordx2 v0, v[2:3], s[6:7] sc0 sc1
.LBB0_328:                              ;   Parent Loop BB0_1 Depth=1
                                        ; =>  This Inner Loop Header: Depth=2
	global_load_dwordx2 v[2:3], v0, s[4:5] sc0 sc1
	s_waitcnt vmcnt(0)
	v_cmp_ne_u64_e32 vcc, s[8:9], v[2:3]
	s_cbranch_vccnz .LBB0_328
; %bb.329:                              ;   in Loop: Header=BB0_1 Depth=1
	s_add_i32 s8, s0, 0xa4
	s_mov_b32 s9, s1
	v_mov_b64_e32 v[2:3], s[8:9]
	global_store_dwordx2 v0, v[2:3], s[6:7] sc0 sc1
.LBB0_330:                              ;   Parent Loop BB0_1 Depth=1
                                        ; =>  This Inner Loop Header: Depth=2
	global_load_dwordx2 v[2:3], v0, s[4:5] sc0 sc1
	s_waitcnt vmcnt(0)
	v_cmp_ne_u64_e32 vcc, s[8:9], v[2:3]
	s_cbranch_vccnz .LBB0_330
; %bb.331:                              ;   in Loop: Header=BB0_1 Depth=1
	s_add_i32 s8, s0, 0xa5
	s_mov_b32 s9, s1
	v_mov_b64_e32 v[2:3], s[8:9]
	global_store_dwordx2 v0, v[2:3], s[6:7] sc0 sc1
.LBB0_332:                              ;   Parent Loop BB0_1 Depth=1
                                        ; =>  This Inner Loop Header: Depth=2
	global_load_dwordx2 v[2:3], v0, s[4:5] sc0 sc1
	s_waitcnt vmcnt(0)
	v_cmp_ne_u64_e32 vcc, s[8:9], v[2:3]
	s_cbranch_vccnz .LBB0_332
; %bb.333:                              ;   in Loop: Header=BB0_1 Depth=1
	s_add_i32 s8, s0, 0xa6
	s_mov_b32 s9, s1
	v_mov_b64_e32 v[2:3], s[8:9]
	global_store_dwordx2 v0, v[2:3], s[6:7] sc0 sc1
.LBB0_334:                              ;   Parent Loop BB0_1 Depth=1
                                        ; =>  This Inner Loop Header: Depth=2
	global_load_dwordx2 v[2:3], v0, s[4:5] sc0 sc1
	s_waitcnt vmcnt(0)
	v_cmp_ne_u64_e32 vcc, s[8:9], v[2:3]
	s_cbranch_vccnz .LBB0_334
; %bb.335:                              ;   in Loop: Header=BB0_1 Depth=1
	s_add_i32 s8, s0, 0xa7
	s_mov_b32 s9, s1
	v_mov_b64_e32 v[2:3], s[8:9]
	global_store_dwordx2 v0, v[2:3], s[6:7] sc0 sc1
.LBB0_336:                              ;   Parent Loop BB0_1 Depth=1
                                        ; =>  This Inner Loop Header: Depth=2
	global_load_dwordx2 v[2:3], v0, s[4:5] sc0 sc1
	s_waitcnt vmcnt(0)
	v_cmp_ne_u64_e32 vcc, s[8:9], v[2:3]
	s_cbranch_vccnz .LBB0_336
; %bb.337:                              ;   in Loop: Header=BB0_1 Depth=1
	s_add_i32 s8, s0, 0xa8
	s_mov_b32 s9, s1
	v_mov_b64_e32 v[2:3], s[8:9]
	global_store_dwordx2 v0, v[2:3], s[6:7] sc0 sc1
.LBB0_338:                              ;   Parent Loop BB0_1 Depth=1
                                        ; =>  This Inner Loop Header: Depth=2
	global_load_dwordx2 v[2:3], v0, s[4:5] sc0 sc1
	s_waitcnt vmcnt(0)
	v_cmp_ne_u64_e32 vcc, s[8:9], v[2:3]
	s_cbranch_vccnz .LBB0_338
; %bb.339:                              ;   in Loop: Header=BB0_1 Depth=1
	s_add_i32 s8, s0, 0xa9
	s_mov_b32 s9, s1
	v_mov_b64_e32 v[2:3], s[8:9]
	global_store_dwordx2 v0, v[2:3], s[6:7] sc0 sc1
.LBB0_340:                              ;   Parent Loop BB0_1 Depth=1
                                        ; =>  This Inner Loop Header: Depth=2
	global_load_dwordx2 v[2:3], v0, s[4:5] sc0 sc1
	s_waitcnt vmcnt(0)
	v_cmp_ne_u64_e32 vcc, s[8:9], v[2:3]
	s_cbranch_vccnz .LBB0_340
; %bb.341:                              ;   in Loop: Header=BB0_1 Depth=1
	s_add_i32 s8, s0, 0xaa
	s_mov_b32 s9, s1
	v_mov_b64_e32 v[2:3], s[8:9]
	global_store_dwordx2 v0, v[2:3], s[6:7] sc0 sc1
.LBB0_342:                              ;   Parent Loop BB0_1 Depth=1
                                        ; =>  This Inner Loop Header: Depth=2
	global_load_dwordx2 v[2:3], v0, s[4:5] sc0 sc1
	s_waitcnt vmcnt(0)
	v_cmp_ne_u64_e32 vcc, s[8:9], v[2:3]
	s_cbranch_vccnz .LBB0_342
; %bb.343:                              ;   in Loop: Header=BB0_1 Depth=1
	s_add_i32 s8, s0, 0xab
	s_mov_b32 s9, s1
	v_mov_b64_e32 v[2:3], s[8:9]
	global_store_dwordx2 v0, v[2:3], s[6:7] sc0 sc1
.LBB0_344:                              ;   Parent Loop BB0_1 Depth=1
                                        ; =>  This Inner Loop Header: Depth=2
	global_load_dwordx2 v[2:3], v0, s[4:5] sc0 sc1
	s_waitcnt vmcnt(0)
	v_cmp_ne_u64_e32 vcc, s[8:9], v[2:3]
	s_cbranch_vccnz .LBB0_344
; %bb.345:                              ;   in Loop: Header=BB0_1 Depth=1
	s_add_i32 s8, s0, 0xac
	s_mov_b32 s9, s1
	v_mov_b64_e32 v[2:3], s[8:9]
	global_store_dwordx2 v0, v[2:3], s[6:7] sc0 sc1
.LBB0_346:                              ;   Parent Loop BB0_1 Depth=1
                                        ; =>  This Inner Loop Header: Depth=2
	global_load_dwordx2 v[2:3], v0, s[4:5] sc0 sc1
	s_waitcnt vmcnt(0)
	v_cmp_ne_u64_e32 vcc, s[8:9], v[2:3]
	s_cbranch_vccnz .LBB0_346
; %bb.347:                              ;   in Loop: Header=BB0_1 Depth=1
	s_add_i32 s8, s0, 0xad
	s_mov_b32 s9, s1
	v_mov_b64_e32 v[2:3], s[8:9]
	global_store_dwordx2 v0, v[2:3], s[6:7] sc0 sc1
.LBB0_348:                              ;   Parent Loop BB0_1 Depth=1
                                        ; =>  This Inner Loop Header: Depth=2
	global_load_dwordx2 v[2:3], v0, s[4:5] sc0 sc1
	s_waitcnt vmcnt(0)
	v_cmp_ne_u64_e32 vcc, s[8:9], v[2:3]
	s_cbranch_vccnz .LBB0_348
; %bb.349:                              ;   in Loop: Header=BB0_1 Depth=1
	s_add_i32 s8, s0, 0xae
	s_mov_b32 s9, s1
	v_mov_b64_e32 v[2:3], s[8:9]
	global_store_dwordx2 v0, v[2:3], s[6:7] sc0 sc1
.LBB0_350:                              ;   Parent Loop BB0_1 Depth=1
                                        ; =>  This Inner Loop Header: Depth=2
	global_load_dwordx2 v[2:3], v0, s[4:5] sc0 sc1
	s_waitcnt vmcnt(0)
	v_cmp_ne_u64_e32 vcc, s[8:9], v[2:3]
	s_cbranch_vccnz .LBB0_350
; %bb.351:                              ;   in Loop: Header=BB0_1 Depth=1
	s_add_i32 s8, s0, 0xaf
	s_mov_b32 s9, s1
	v_mov_b64_e32 v[2:3], s[8:9]
	global_store_dwordx2 v0, v[2:3], s[6:7] sc0 sc1
.LBB0_352:                              ;   Parent Loop BB0_1 Depth=1
                                        ; =>  This Inner Loop Header: Depth=2
	global_load_dwordx2 v[2:3], v0, s[4:5] sc0 sc1
	s_waitcnt vmcnt(0)
	v_cmp_ne_u64_e32 vcc, s[8:9], v[2:3]
	s_cbranch_vccnz .LBB0_352
; %bb.353:                              ;   in Loop: Header=BB0_1 Depth=1
	s_add_i32 s8, s0, 0xb0
	s_mov_b32 s9, s1
	v_mov_b64_e32 v[2:3], s[8:9]
	global_store_dwordx2 v0, v[2:3], s[6:7] sc0 sc1
.LBB0_354:                              ;   Parent Loop BB0_1 Depth=1
                                        ; =>  This Inner Loop Header: Depth=2
	global_load_dwordx2 v[2:3], v0, s[4:5] sc0 sc1
	s_waitcnt vmcnt(0)
	v_cmp_ne_u64_e32 vcc, s[8:9], v[2:3]
	s_cbranch_vccnz .LBB0_354
; %bb.355:                              ;   in Loop: Header=BB0_1 Depth=1
	s_add_i32 s8, s0, 0xb1
	s_mov_b32 s9, s1
	v_mov_b64_e32 v[2:3], s[8:9]
	global_store_dwordx2 v0, v[2:3], s[6:7] sc0 sc1
.LBB0_356:                              ;   Parent Loop BB0_1 Depth=1
                                        ; =>  This Inner Loop Header: Depth=2
	global_load_dwordx2 v[2:3], v0, s[4:5] sc0 sc1
	s_waitcnt vmcnt(0)
	v_cmp_ne_u64_e32 vcc, s[8:9], v[2:3]
	s_cbranch_vccnz .LBB0_356
; %bb.357:                              ;   in Loop: Header=BB0_1 Depth=1
	s_add_i32 s8, s0, 0xb2
	s_mov_b32 s9, s1
	v_mov_b64_e32 v[2:3], s[8:9]
	global_store_dwordx2 v0, v[2:3], s[6:7] sc0 sc1
.LBB0_358:                              ;   Parent Loop BB0_1 Depth=1
                                        ; =>  This Inner Loop Header: Depth=2
	global_load_dwordx2 v[2:3], v0, s[4:5] sc0 sc1
	s_waitcnt vmcnt(0)
	v_cmp_ne_u64_e32 vcc, s[8:9], v[2:3]
	s_cbranch_vccnz .LBB0_358
; %bb.359:                              ;   in Loop: Header=BB0_1 Depth=1
	s_add_i32 s8, s0, 0xb3
	s_mov_b32 s9, s1
	v_mov_b64_e32 v[2:3], s[8:9]
	global_store_dwordx2 v0, v[2:3], s[6:7] sc0 sc1
.LBB0_360:                              ;   Parent Loop BB0_1 Depth=1
                                        ; =>  This Inner Loop Header: Depth=2
	global_load_dwordx2 v[2:3], v0, s[4:5] sc0 sc1
	s_waitcnt vmcnt(0)
	v_cmp_ne_u64_e32 vcc, s[8:9], v[2:3]
	s_cbranch_vccnz .LBB0_360
; %bb.361:                              ;   in Loop: Header=BB0_1 Depth=1
	s_add_i32 s8, s0, 0xb4
	s_mov_b32 s9, s1
	v_mov_b64_e32 v[2:3], s[8:9]
	global_store_dwordx2 v0, v[2:3], s[6:7] sc0 sc1
.LBB0_362:                              ;   Parent Loop BB0_1 Depth=1
                                        ; =>  This Inner Loop Header: Depth=2
	global_load_dwordx2 v[2:3], v0, s[4:5] sc0 sc1
	s_waitcnt vmcnt(0)
	v_cmp_ne_u64_e32 vcc, s[8:9], v[2:3]
	s_cbranch_vccnz .LBB0_362
; %bb.363:                              ;   in Loop: Header=BB0_1 Depth=1
	s_add_i32 s8, s0, 0xb5
	s_mov_b32 s9, s1
	v_mov_b64_e32 v[2:3], s[8:9]
	global_store_dwordx2 v0, v[2:3], s[6:7] sc0 sc1
.LBB0_364:                              ;   Parent Loop BB0_1 Depth=1
                                        ; =>  This Inner Loop Header: Depth=2
	global_load_dwordx2 v[2:3], v0, s[4:5] sc0 sc1
	s_waitcnt vmcnt(0)
	v_cmp_ne_u64_e32 vcc, s[8:9], v[2:3]
	s_cbranch_vccnz .LBB0_364
; %bb.365:                              ;   in Loop: Header=BB0_1 Depth=1
	s_add_i32 s8, s0, 0xb6
	s_mov_b32 s9, s1
	v_mov_b64_e32 v[2:3], s[8:9]
	global_store_dwordx2 v0, v[2:3], s[6:7] sc0 sc1
.LBB0_366:                              ;   Parent Loop BB0_1 Depth=1
                                        ; =>  This Inner Loop Header: Depth=2
	global_load_dwordx2 v[2:3], v0, s[4:5] sc0 sc1
	s_waitcnt vmcnt(0)
	v_cmp_ne_u64_e32 vcc, s[8:9], v[2:3]
	s_cbranch_vccnz .LBB0_366
; %bb.367:                              ;   in Loop: Header=BB0_1 Depth=1
	s_add_i32 s8, s0, 0xb7
	s_mov_b32 s9, s1
	v_mov_b64_e32 v[2:3], s[8:9]
	global_store_dwordx2 v0, v[2:3], s[6:7] sc0 sc1
.LBB0_368:                              ;   Parent Loop BB0_1 Depth=1
                                        ; =>  This Inner Loop Header: Depth=2
	global_load_dwordx2 v[2:3], v0, s[4:5] sc0 sc1
	s_waitcnt vmcnt(0)
	v_cmp_ne_u64_e32 vcc, s[8:9], v[2:3]
	s_cbranch_vccnz .LBB0_368
; %bb.369:                              ;   in Loop: Header=BB0_1 Depth=1
	s_add_i32 s8, s0, 0xb8
	s_mov_b32 s9, s1
	v_mov_b64_e32 v[2:3], s[8:9]
	global_store_dwordx2 v0, v[2:3], s[6:7] sc0 sc1
.LBB0_370:                              ;   Parent Loop BB0_1 Depth=1
                                        ; =>  This Inner Loop Header: Depth=2
	global_load_dwordx2 v[2:3], v0, s[4:5] sc0 sc1
	s_waitcnt vmcnt(0)
	v_cmp_ne_u64_e32 vcc, s[8:9], v[2:3]
	s_cbranch_vccnz .LBB0_370
; %bb.371:                              ;   in Loop: Header=BB0_1 Depth=1
	s_add_i32 s8, s0, 0xb9
	s_mov_b32 s9, s1
	v_mov_b64_e32 v[2:3], s[8:9]
	global_store_dwordx2 v0, v[2:3], s[6:7] sc0 sc1
.LBB0_372:                              ;   Parent Loop BB0_1 Depth=1
                                        ; =>  This Inner Loop Header: Depth=2
	global_load_dwordx2 v[2:3], v0, s[4:5] sc0 sc1
	s_waitcnt vmcnt(0)
	v_cmp_ne_u64_e32 vcc, s[8:9], v[2:3]
	s_cbranch_vccnz .LBB0_372
; %bb.373:                              ;   in Loop: Header=BB0_1 Depth=1
	s_add_i32 s8, s0, 0xba
	s_mov_b32 s9, s1
	v_mov_b64_e32 v[2:3], s[8:9]
	global_store_dwordx2 v0, v[2:3], s[6:7] sc0 sc1
.LBB0_374:                              ;   Parent Loop BB0_1 Depth=1
                                        ; =>  This Inner Loop Header: Depth=2
	global_load_dwordx2 v[2:3], v0, s[4:5] sc0 sc1
	s_waitcnt vmcnt(0)
	v_cmp_ne_u64_e32 vcc, s[8:9], v[2:3]
	s_cbranch_vccnz .LBB0_374
; %bb.375:                              ;   in Loop: Header=BB0_1 Depth=1
	s_add_i32 s8, s0, 0xbb
	s_mov_b32 s9, s1
	v_mov_b64_e32 v[2:3], s[8:9]
	global_store_dwordx2 v0, v[2:3], s[6:7] sc0 sc1
.LBB0_376:                              ;   Parent Loop BB0_1 Depth=1
                                        ; =>  This Inner Loop Header: Depth=2
	global_load_dwordx2 v[2:3], v0, s[4:5] sc0 sc1
	s_waitcnt vmcnt(0)
	v_cmp_ne_u64_e32 vcc, s[8:9], v[2:3]
	s_cbranch_vccnz .LBB0_376
; %bb.377:                              ;   in Loop: Header=BB0_1 Depth=1
	s_add_i32 s8, s0, 0xbc
	s_mov_b32 s9, s1
	v_mov_b64_e32 v[2:3], s[8:9]
	global_store_dwordx2 v0, v[2:3], s[6:7] sc0 sc1
.LBB0_378:                              ;   Parent Loop BB0_1 Depth=1
                                        ; =>  This Inner Loop Header: Depth=2
	global_load_dwordx2 v[2:3], v0, s[4:5] sc0 sc1
	s_waitcnt vmcnt(0)
	v_cmp_ne_u64_e32 vcc, s[8:9], v[2:3]
	s_cbranch_vccnz .LBB0_378
; %bb.379:                              ;   in Loop: Header=BB0_1 Depth=1
	s_add_i32 s8, s0, 0xbd
	s_mov_b32 s9, s1
	v_mov_b64_e32 v[2:3], s[8:9]
	global_store_dwordx2 v0, v[2:3], s[6:7] sc0 sc1
.LBB0_380:                              ;   Parent Loop BB0_1 Depth=1
                                        ; =>  This Inner Loop Header: Depth=2
	global_load_dwordx2 v[2:3], v0, s[4:5] sc0 sc1
	s_waitcnt vmcnt(0)
	v_cmp_ne_u64_e32 vcc, s[8:9], v[2:3]
	s_cbranch_vccnz .LBB0_380
; %bb.381:                              ;   in Loop: Header=BB0_1 Depth=1
	s_add_i32 s8, s0, 0xbe
	s_mov_b32 s9, s1
	v_mov_b64_e32 v[2:3], s[8:9]
	global_store_dwordx2 v0, v[2:3], s[6:7] sc0 sc1
.LBB0_382:                              ;   Parent Loop BB0_1 Depth=1
                                        ; =>  This Inner Loop Header: Depth=2
	global_load_dwordx2 v[2:3], v0, s[4:5] sc0 sc1
	s_waitcnt vmcnt(0)
	v_cmp_ne_u64_e32 vcc, s[8:9], v[2:3]
	s_cbranch_vccnz .LBB0_382
; %bb.383:                              ;   in Loop: Header=BB0_1 Depth=1
	s_add_i32 s8, s0, 0xbf
	s_mov_b32 s9, s1
	v_mov_b64_e32 v[2:3], s[8:9]
	global_store_dwordx2 v0, v[2:3], s[6:7] sc0 sc1
.LBB0_384:                              ;   Parent Loop BB0_1 Depth=1
                                        ; =>  This Inner Loop Header: Depth=2
	global_load_dwordx2 v[2:3], v0, s[4:5] sc0 sc1
	s_waitcnt vmcnt(0)
	v_cmp_ne_u64_e32 vcc, s[8:9], v[2:3]
	s_cbranch_vccnz .LBB0_384
; %bb.385:                              ;   in Loop: Header=BB0_1 Depth=1
	s_add_i32 s8, s0, 0xc0
	s_mov_b32 s9, s1
	v_mov_b64_e32 v[2:3], s[8:9]
	global_store_dwordx2 v0, v[2:3], s[6:7] sc0 sc1
.LBB0_386:                              ;   Parent Loop BB0_1 Depth=1
                                        ; =>  This Inner Loop Header: Depth=2
	global_load_dwordx2 v[2:3], v0, s[4:5] sc0 sc1
	s_waitcnt vmcnt(0)
	v_cmp_ne_u64_e32 vcc, s[8:9], v[2:3]
	s_cbranch_vccnz .LBB0_386
; %bb.387:                              ;   in Loop: Header=BB0_1 Depth=1
	s_add_i32 s8, s0, 0xc1
	s_mov_b32 s9, s1
	v_mov_b64_e32 v[2:3], s[8:9]
	global_store_dwordx2 v0, v[2:3], s[6:7] sc0 sc1
.LBB0_388:                              ;   Parent Loop BB0_1 Depth=1
                                        ; =>  This Inner Loop Header: Depth=2
	global_load_dwordx2 v[2:3], v0, s[4:5] sc0 sc1
	s_waitcnt vmcnt(0)
	v_cmp_ne_u64_e32 vcc, s[8:9], v[2:3]
	s_cbranch_vccnz .LBB0_388
; %bb.389:                              ;   in Loop: Header=BB0_1 Depth=1
	s_add_i32 s8, s0, 0xc2
	s_mov_b32 s9, s1
	v_mov_b64_e32 v[2:3], s[8:9]
	global_store_dwordx2 v0, v[2:3], s[6:7] sc0 sc1
.LBB0_390:                              ;   Parent Loop BB0_1 Depth=1
                                        ; =>  This Inner Loop Header: Depth=2
	global_load_dwordx2 v[2:3], v0, s[4:5] sc0 sc1
	s_waitcnt vmcnt(0)
	v_cmp_ne_u64_e32 vcc, s[8:9], v[2:3]
	s_cbranch_vccnz .LBB0_390
; %bb.391:                              ;   in Loop: Header=BB0_1 Depth=1
	s_add_i32 s8, s0, 0xc3
	s_mov_b32 s9, s1
	v_mov_b64_e32 v[2:3], s[8:9]
	global_store_dwordx2 v0, v[2:3], s[6:7] sc0 sc1
.LBB0_392:                              ;   Parent Loop BB0_1 Depth=1
                                        ; =>  This Inner Loop Header: Depth=2
	global_load_dwordx2 v[2:3], v0, s[4:5] sc0 sc1
	s_waitcnt vmcnt(0)
	v_cmp_ne_u64_e32 vcc, s[8:9], v[2:3]
	s_cbranch_vccnz .LBB0_392
; %bb.393:                              ;   in Loop: Header=BB0_1 Depth=1
	s_add_i32 s8, s0, 0xc4
	s_mov_b32 s9, s1
	v_mov_b64_e32 v[2:3], s[8:9]
	global_store_dwordx2 v0, v[2:3], s[6:7] sc0 sc1
.LBB0_394:                              ;   Parent Loop BB0_1 Depth=1
                                        ; =>  This Inner Loop Header: Depth=2
	global_load_dwordx2 v[2:3], v0, s[4:5] sc0 sc1
	s_waitcnt vmcnt(0)
	v_cmp_ne_u64_e32 vcc, s[8:9], v[2:3]
	s_cbranch_vccnz .LBB0_394
; %bb.395:                              ;   in Loop: Header=BB0_1 Depth=1
	s_add_i32 s8, s0, 0xc5
	s_mov_b32 s9, s1
	v_mov_b64_e32 v[2:3], s[8:9]
	global_store_dwordx2 v0, v[2:3], s[6:7] sc0 sc1
.LBB0_396:                              ;   Parent Loop BB0_1 Depth=1
                                        ; =>  This Inner Loop Header: Depth=2
	global_load_dwordx2 v[2:3], v0, s[4:5] sc0 sc1
	s_waitcnt vmcnt(0)
	v_cmp_ne_u64_e32 vcc, s[8:9], v[2:3]
	s_cbranch_vccnz .LBB0_396
; %bb.397:                              ;   in Loop: Header=BB0_1 Depth=1
	s_add_i32 s8, s0, 0xc6
	s_mov_b32 s9, s1
	v_mov_b64_e32 v[2:3], s[8:9]
	global_store_dwordx2 v0, v[2:3], s[6:7] sc0 sc1
.LBB0_398:                              ;   Parent Loop BB0_1 Depth=1
                                        ; =>  This Inner Loop Header: Depth=2
	global_load_dwordx2 v[2:3], v0, s[4:5] sc0 sc1
	s_waitcnt vmcnt(0)
	v_cmp_ne_u64_e32 vcc, s[8:9], v[2:3]
	s_cbranch_vccnz .LBB0_398
; %bb.399:                              ;   in Loop: Header=BB0_1 Depth=1
	s_add_i32 s8, s0, 0xc7
	s_mov_b32 s9, s1
	v_mov_b64_e32 v[2:3], s[8:9]
	global_store_dwordx2 v0, v[2:3], s[6:7] sc0 sc1
.LBB0_400:                              ;   Parent Loop BB0_1 Depth=1
                                        ; =>  This Inner Loop Header: Depth=2
	global_load_dwordx2 v[2:3], v0, s[4:5] sc0 sc1
	s_waitcnt vmcnt(0)
	v_cmp_ne_u64_e32 vcc, s[8:9], v[2:3]
	s_cbranch_vccnz .LBB0_400
; %bb.401:                              ;   in Loop: Header=BB0_1 Depth=1
	s_add_i32 s8, s0, 0xc8
	s_mov_b32 s9, s1
	v_mov_b64_e32 v[2:3], s[8:9]
	global_store_dwordx2 v0, v[2:3], s[6:7] sc0 sc1
.LBB0_402:                              ;   Parent Loop BB0_1 Depth=1
                                        ; =>  This Inner Loop Header: Depth=2
	global_load_dwordx2 v[2:3], v0, s[4:5] sc0 sc1
	s_waitcnt vmcnt(0)
	v_cmp_ne_u64_e32 vcc, s[8:9], v[2:3]
	s_cbranch_vccnz .LBB0_402
; %bb.403:                              ;   in Loop: Header=BB0_1 Depth=1
	s_add_i32 s8, s0, 0xc9
	s_mov_b32 s9, s1
	v_mov_b64_e32 v[2:3], s[8:9]
	global_store_dwordx2 v0, v[2:3], s[6:7] sc0 sc1
.LBB0_404:                              ;   Parent Loop BB0_1 Depth=1
                                        ; =>  This Inner Loop Header: Depth=2
	global_load_dwordx2 v[2:3], v0, s[4:5] sc0 sc1
	s_waitcnt vmcnt(0)
	v_cmp_ne_u64_e32 vcc, s[8:9], v[2:3]
	s_cbranch_vccnz .LBB0_404
; %bb.405:                              ;   in Loop: Header=BB0_1 Depth=1
	s_add_i32 s8, s0, 0xca
	s_mov_b32 s9, s1
	v_mov_b64_e32 v[2:3], s[8:9]
	global_store_dwordx2 v0, v[2:3], s[6:7] sc0 sc1
.LBB0_406:                              ;   Parent Loop BB0_1 Depth=1
                                        ; =>  This Inner Loop Header: Depth=2
	global_load_dwordx2 v[2:3], v0, s[4:5] sc0 sc1
	s_waitcnt vmcnt(0)
	v_cmp_ne_u64_e32 vcc, s[8:9], v[2:3]
	s_cbranch_vccnz .LBB0_406
; %bb.407:                              ;   in Loop: Header=BB0_1 Depth=1
	s_add_i32 s8, s0, 0xcb
	s_mov_b32 s9, s1
	v_mov_b64_e32 v[2:3], s[8:9]
	global_store_dwordx2 v0, v[2:3], s[6:7] sc0 sc1
.LBB0_408:                              ;   Parent Loop BB0_1 Depth=1
                                        ; =>  This Inner Loop Header: Depth=2
	global_load_dwordx2 v[2:3], v0, s[4:5] sc0 sc1
	s_waitcnt vmcnt(0)
	v_cmp_ne_u64_e32 vcc, s[8:9], v[2:3]
	s_cbranch_vccnz .LBB0_408
; %bb.409:                              ;   in Loop: Header=BB0_1 Depth=1
	s_add_i32 s8, s0, 0xcc
	s_mov_b32 s9, s1
	v_mov_b64_e32 v[2:3], s[8:9]
	global_store_dwordx2 v0, v[2:3], s[6:7] sc0 sc1
.LBB0_410:                              ;   Parent Loop BB0_1 Depth=1
                                        ; =>  This Inner Loop Header: Depth=2
	global_load_dwordx2 v[2:3], v0, s[4:5] sc0 sc1
	s_waitcnt vmcnt(0)
	v_cmp_ne_u64_e32 vcc, s[8:9], v[2:3]
	s_cbranch_vccnz .LBB0_410
; %bb.411:                              ;   in Loop: Header=BB0_1 Depth=1
	s_add_i32 s8, s0, 0xcd
	s_mov_b32 s9, s1
	v_mov_b64_e32 v[2:3], s[8:9]
	global_store_dwordx2 v0, v[2:3], s[6:7] sc0 sc1
.LBB0_412:                              ;   Parent Loop BB0_1 Depth=1
                                        ; =>  This Inner Loop Header: Depth=2
	global_load_dwordx2 v[2:3], v0, s[4:5] sc0 sc1
	s_waitcnt vmcnt(0)
	v_cmp_ne_u64_e32 vcc, s[8:9], v[2:3]
	s_cbranch_vccnz .LBB0_412
; %bb.413:                              ;   in Loop: Header=BB0_1 Depth=1
	s_add_i32 s8, s0, 0xce
	s_mov_b32 s9, s1
	v_mov_b64_e32 v[2:3], s[8:9]
	global_store_dwordx2 v0, v[2:3], s[6:7] sc0 sc1
.LBB0_414:                              ;   Parent Loop BB0_1 Depth=1
                                        ; =>  This Inner Loop Header: Depth=2
	global_load_dwordx2 v[2:3], v0, s[4:5] sc0 sc1
	s_waitcnt vmcnt(0)
	v_cmp_ne_u64_e32 vcc, s[8:9], v[2:3]
	s_cbranch_vccnz .LBB0_414
; %bb.415:                              ;   in Loop: Header=BB0_1 Depth=1
	s_add_i32 s8, s0, 0xcf
	s_mov_b32 s9, s1
	v_mov_b64_e32 v[2:3], s[8:9]
	global_store_dwordx2 v0, v[2:3], s[6:7] sc0 sc1
.LBB0_416:                              ;   Parent Loop BB0_1 Depth=1
                                        ; =>  This Inner Loop Header: Depth=2
	global_load_dwordx2 v[2:3], v0, s[4:5] sc0 sc1
	s_waitcnt vmcnt(0)
	v_cmp_ne_u64_e32 vcc, s[8:9], v[2:3]
	s_cbranch_vccnz .LBB0_416
; %bb.417:                              ;   in Loop: Header=BB0_1 Depth=1
	s_add_i32 s8, s0, 0xd0
	s_mov_b32 s9, s1
	v_mov_b64_e32 v[2:3], s[8:9]
	global_store_dwordx2 v0, v[2:3], s[6:7] sc0 sc1
.LBB0_418:                              ;   Parent Loop BB0_1 Depth=1
                                        ; =>  This Inner Loop Header: Depth=2
	global_load_dwordx2 v[2:3], v0, s[4:5] sc0 sc1
	s_waitcnt vmcnt(0)
	v_cmp_ne_u64_e32 vcc, s[8:9], v[2:3]
	s_cbranch_vccnz .LBB0_418
; %bb.419:                              ;   in Loop: Header=BB0_1 Depth=1
	s_add_i32 s8, s0, 0xd1
	s_mov_b32 s9, s1
	v_mov_b64_e32 v[2:3], s[8:9]
	global_store_dwordx2 v0, v[2:3], s[6:7] sc0 sc1
.LBB0_420:                              ;   Parent Loop BB0_1 Depth=1
                                        ; =>  This Inner Loop Header: Depth=2
	global_load_dwordx2 v[2:3], v0, s[4:5] sc0 sc1
	s_waitcnt vmcnt(0)
	v_cmp_ne_u64_e32 vcc, s[8:9], v[2:3]
	s_cbranch_vccnz .LBB0_420
; %bb.421:                              ;   in Loop: Header=BB0_1 Depth=1
	s_add_i32 s8, s0, 0xd2
	s_mov_b32 s9, s1
	v_mov_b64_e32 v[2:3], s[8:9]
	global_store_dwordx2 v0, v[2:3], s[6:7] sc0 sc1
.LBB0_422:                              ;   Parent Loop BB0_1 Depth=1
                                        ; =>  This Inner Loop Header: Depth=2
	global_load_dwordx2 v[2:3], v0, s[4:5] sc0 sc1
	s_waitcnt vmcnt(0)
	v_cmp_ne_u64_e32 vcc, s[8:9], v[2:3]
	s_cbranch_vccnz .LBB0_422
; %bb.423:                              ;   in Loop: Header=BB0_1 Depth=1
	s_add_i32 s8, s0, 0xd3
	s_mov_b32 s9, s1
	v_mov_b64_e32 v[2:3], s[8:9]
	global_store_dwordx2 v0, v[2:3], s[6:7] sc0 sc1
.LBB0_424:                              ;   Parent Loop BB0_1 Depth=1
                                        ; =>  This Inner Loop Header: Depth=2
	global_load_dwordx2 v[2:3], v0, s[4:5] sc0 sc1
	s_waitcnt vmcnt(0)
	v_cmp_ne_u64_e32 vcc, s[8:9], v[2:3]
	s_cbranch_vccnz .LBB0_424
; %bb.425:                              ;   in Loop: Header=BB0_1 Depth=1
	s_add_i32 s8, s0, 0xd4
	s_mov_b32 s9, s1
	v_mov_b64_e32 v[2:3], s[8:9]
	global_store_dwordx2 v0, v[2:3], s[6:7] sc0 sc1
.LBB0_426:                              ;   Parent Loop BB0_1 Depth=1
                                        ; =>  This Inner Loop Header: Depth=2
	global_load_dwordx2 v[2:3], v0, s[4:5] sc0 sc1
	s_waitcnt vmcnt(0)
	v_cmp_ne_u64_e32 vcc, s[8:9], v[2:3]
	s_cbranch_vccnz .LBB0_426
; %bb.427:                              ;   in Loop: Header=BB0_1 Depth=1
	s_add_i32 s8, s0, 0xd5
	s_mov_b32 s9, s1
	v_mov_b64_e32 v[2:3], s[8:9]
	global_store_dwordx2 v0, v[2:3], s[6:7] sc0 sc1
.LBB0_428:                              ;   Parent Loop BB0_1 Depth=1
                                        ; =>  This Inner Loop Header: Depth=2
	global_load_dwordx2 v[2:3], v0, s[4:5] sc0 sc1
	s_waitcnt vmcnt(0)
	v_cmp_ne_u64_e32 vcc, s[8:9], v[2:3]
	s_cbranch_vccnz .LBB0_428
; %bb.429:                              ;   in Loop: Header=BB0_1 Depth=1
	s_add_i32 s8, s0, 0xd6
	s_mov_b32 s9, s1
	v_mov_b64_e32 v[2:3], s[8:9]
	global_store_dwordx2 v0, v[2:3], s[6:7] sc0 sc1
.LBB0_430:                              ;   Parent Loop BB0_1 Depth=1
                                        ; =>  This Inner Loop Header: Depth=2
	global_load_dwordx2 v[2:3], v0, s[4:5] sc0 sc1
	s_waitcnt vmcnt(0)
	v_cmp_ne_u64_e32 vcc, s[8:9], v[2:3]
	s_cbranch_vccnz .LBB0_430
; %bb.431:                              ;   in Loop: Header=BB0_1 Depth=1
	s_add_i32 s8, s0, 0xd7
	s_mov_b32 s9, s1
	v_mov_b64_e32 v[2:3], s[8:9]
	global_store_dwordx2 v0, v[2:3], s[6:7] sc0 sc1
.LBB0_432:                              ;   Parent Loop BB0_1 Depth=1
                                        ; =>  This Inner Loop Header: Depth=2
	global_load_dwordx2 v[2:3], v0, s[4:5] sc0 sc1
	s_waitcnt vmcnt(0)
	v_cmp_ne_u64_e32 vcc, s[8:9], v[2:3]
	s_cbranch_vccnz .LBB0_432
; %bb.433:                              ;   in Loop: Header=BB0_1 Depth=1
	s_add_i32 s8, s0, 0xd8
	s_mov_b32 s9, s1
	v_mov_b64_e32 v[2:3], s[8:9]
	global_store_dwordx2 v0, v[2:3], s[6:7] sc0 sc1
.LBB0_434:                              ;   Parent Loop BB0_1 Depth=1
                                        ; =>  This Inner Loop Header: Depth=2
	global_load_dwordx2 v[2:3], v0, s[4:5] sc0 sc1
	s_waitcnt vmcnt(0)
	v_cmp_ne_u64_e32 vcc, s[8:9], v[2:3]
	s_cbranch_vccnz .LBB0_434
; %bb.435:                              ;   in Loop: Header=BB0_1 Depth=1
	s_add_i32 s8, s0, 0xd9
	s_mov_b32 s9, s1
	v_mov_b64_e32 v[2:3], s[8:9]
	global_store_dwordx2 v0, v[2:3], s[6:7] sc0 sc1
.LBB0_436:                              ;   Parent Loop BB0_1 Depth=1
                                        ; =>  This Inner Loop Header: Depth=2
	global_load_dwordx2 v[2:3], v0, s[4:5] sc0 sc1
	s_waitcnt vmcnt(0)
	v_cmp_ne_u64_e32 vcc, s[8:9], v[2:3]
	s_cbranch_vccnz .LBB0_436
; %bb.437:                              ;   in Loop: Header=BB0_1 Depth=1
	s_add_i32 s8, s0, 0xda
	s_mov_b32 s9, s1
	v_mov_b64_e32 v[2:3], s[8:9]
	global_store_dwordx2 v0, v[2:3], s[6:7] sc0 sc1
.LBB0_438:                              ;   Parent Loop BB0_1 Depth=1
                                        ; =>  This Inner Loop Header: Depth=2
	global_load_dwordx2 v[2:3], v0, s[4:5] sc0 sc1
	s_waitcnt vmcnt(0)
	v_cmp_ne_u64_e32 vcc, s[8:9], v[2:3]
	s_cbranch_vccnz .LBB0_438
; %bb.439:                              ;   in Loop: Header=BB0_1 Depth=1
	s_add_i32 s8, s0, 0xdb
	s_mov_b32 s9, s1
	v_mov_b64_e32 v[2:3], s[8:9]
	global_store_dwordx2 v0, v[2:3], s[6:7] sc0 sc1
.LBB0_440:                              ;   Parent Loop BB0_1 Depth=1
                                        ; =>  This Inner Loop Header: Depth=2
	global_load_dwordx2 v[2:3], v0, s[4:5] sc0 sc1
	s_waitcnt vmcnt(0)
	v_cmp_ne_u64_e32 vcc, s[8:9], v[2:3]
	s_cbranch_vccnz .LBB0_440
; %bb.441:                              ;   in Loop: Header=BB0_1 Depth=1
	s_add_i32 s8, s0, 0xdc
	s_mov_b32 s9, s1
	v_mov_b64_e32 v[2:3], s[8:9]
	global_store_dwordx2 v0, v[2:3], s[6:7] sc0 sc1
.LBB0_442:                              ;   Parent Loop BB0_1 Depth=1
                                        ; =>  This Inner Loop Header: Depth=2
	global_load_dwordx2 v[2:3], v0, s[4:5] sc0 sc1
	s_waitcnt vmcnt(0)
	v_cmp_ne_u64_e32 vcc, s[8:9], v[2:3]
	s_cbranch_vccnz .LBB0_442
; %bb.443:                              ;   in Loop: Header=BB0_1 Depth=1
	s_add_i32 s8, s0, 0xdd
	s_mov_b32 s9, s1
	v_mov_b64_e32 v[2:3], s[8:9]
	global_store_dwordx2 v0, v[2:3], s[6:7] sc0 sc1
.LBB0_444:                              ;   Parent Loop BB0_1 Depth=1
                                        ; =>  This Inner Loop Header: Depth=2
	global_load_dwordx2 v[2:3], v0, s[4:5] sc0 sc1
	s_waitcnt vmcnt(0)
	v_cmp_ne_u64_e32 vcc, s[8:9], v[2:3]
	s_cbranch_vccnz .LBB0_444
; %bb.445:                              ;   in Loop: Header=BB0_1 Depth=1
	s_add_i32 s8, s0, 0xde
	s_mov_b32 s9, s1
	v_mov_b64_e32 v[2:3], s[8:9]
	global_store_dwordx2 v0, v[2:3], s[6:7] sc0 sc1
.LBB0_446:                              ;   Parent Loop BB0_1 Depth=1
                                        ; =>  This Inner Loop Header: Depth=2
	global_load_dwordx2 v[2:3], v0, s[4:5] sc0 sc1
	s_waitcnt vmcnt(0)
	v_cmp_ne_u64_e32 vcc, s[8:9], v[2:3]
	s_cbranch_vccnz .LBB0_446
; %bb.447:                              ;   in Loop: Header=BB0_1 Depth=1
	s_add_i32 s8, s0, 0xdf
	s_mov_b32 s9, s1
	v_mov_b64_e32 v[2:3], s[8:9]
	global_store_dwordx2 v0, v[2:3], s[6:7] sc0 sc1
.LBB0_448:                              ;   Parent Loop BB0_1 Depth=1
                                        ; =>  This Inner Loop Header: Depth=2
	global_load_dwordx2 v[2:3], v0, s[4:5] sc0 sc1
	s_waitcnt vmcnt(0)
	v_cmp_ne_u64_e32 vcc, s[8:9], v[2:3]
	s_cbranch_vccnz .LBB0_448
; %bb.449:                              ;   in Loop: Header=BB0_1 Depth=1
	s_add_i32 s8, s0, 0xe0
	s_mov_b32 s9, s1
	v_mov_b64_e32 v[2:3], s[8:9]
	global_store_dwordx2 v0, v[2:3], s[6:7] sc0 sc1
.LBB0_450:                              ;   Parent Loop BB0_1 Depth=1
                                        ; =>  This Inner Loop Header: Depth=2
	global_load_dwordx2 v[2:3], v0, s[4:5] sc0 sc1
	s_waitcnt vmcnt(0)
	v_cmp_ne_u64_e32 vcc, s[8:9], v[2:3]
	s_cbranch_vccnz .LBB0_450
; %bb.451:                              ;   in Loop: Header=BB0_1 Depth=1
	s_add_i32 s8, s0, 0xe1
	s_mov_b32 s9, s1
	v_mov_b64_e32 v[2:3], s[8:9]
	global_store_dwordx2 v0, v[2:3], s[6:7] sc0 sc1
.LBB0_452:                              ;   Parent Loop BB0_1 Depth=1
                                        ; =>  This Inner Loop Header: Depth=2
	global_load_dwordx2 v[2:3], v0, s[4:5] sc0 sc1
	s_waitcnt vmcnt(0)
	v_cmp_ne_u64_e32 vcc, s[8:9], v[2:3]
	s_cbranch_vccnz .LBB0_452
; %bb.453:                              ;   in Loop: Header=BB0_1 Depth=1
	s_add_i32 s8, s0, 0xe2
	s_mov_b32 s9, s1
	v_mov_b64_e32 v[2:3], s[8:9]
	global_store_dwordx2 v0, v[2:3], s[6:7] sc0 sc1
.LBB0_454:                              ;   Parent Loop BB0_1 Depth=1
                                        ; =>  This Inner Loop Header: Depth=2
	global_load_dwordx2 v[2:3], v0, s[4:5] sc0 sc1
	s_waitcnt vmcnt(0)
	v_cmp_ne_u64_e32 vcc, s[8:9], v[2:3]
	s_cbranch_vccnz .LBB0_454
; %bb.455:                              ;   in Loop: Header=BB0_1 Depth=1
	s_add_i32 s8, s0, 0xe3
	s_mov_b32 s9, s1
	v_mov_b64_e32 v[2:3], s[8:9]
	global_store_dwordx2 v0, v[2:3], s[6:7] sc0 sc1
.LBB0_456:                              ;   Parent Loop BB0_1 Depth=1
                                        ; =>  This Inner Loop Header: Depth=2
	global_load_dwordx2 v[2:3], v0, s[4:5] sc0 sc1
	s_waitcnt vmcnt(0)
	v_cmp_ne_u64_e32 vcc, s[8:9], v[2:3]
	s_cbranch_vccnz .LBB0_456
; %bb.457:                              ;   in Loop: Header=BB0_1 Depth=1
	s_add_i32 s8, s0, 0xe4
	s_mov_b32 s9, s1
	v_mov_b64_e32 v[2:3], s[8:9]
	global_store_dwordx2 v0, v[2:3], s[6:7] sc0 sc1
.LBB0_458:                              ;   Parent Loop BB0_1 Depth=1
                                        ; =>  This Inner Loop Header: Depth=2
	global_load_dwordx2 v[2:3], v0, s[4:5] sc0 sc1
	s_waitcnt vmcnt(0)
	v_cmp_ne_u64_e32 vcc, s[8:9], v[2:3]
	s_cbranch_vccnz .LBB0_458
; %bb.459:                              ;   in Loop: Header=BB0_1 Depth=1
	s_add_i32 s8, s0, 0xe5
	s_mov_b32 s9, s1
	v_mov_b64_e32 v[2:3], s[8:9]
	global_store_dwordx2 v0, v[2:3], s[6:7] sc0 sc1
.LBB0_460:                              ;   Parent Loop BB0_1 Depth=1
                                        ; =>  This Inner Loop Header: Depth=2
	global_load_dwordx2 v[2:3], v0, s[4:5] sc0 sc1
	s_waitcnt vmcnt(0)
	v_cmp_ne_u64_e32 vcc, s[8:9], v[2:3]
	s_cbranch_vccnz .LBB0_460
; %bb.461:                              ;   in Loop: Header=BB0_1 Depth=1
	s_add_i32 s8, s0, 0xe6
	s_mov_b32 s9, s1
	v_mov_b64_e32 v[2:3], s[8:9]
	global_store_dwordx2 v0, v[2:3], s[6:7] sc0 sc1
.LBB0_462:                              ;   Parent Loop BB0_1 Depth=1
                                        ; =>  This Inner Loop Header: Depth=2
	global_load_dwordx2 v[2:3], v0, s[4:5] sc0 sc1
	s_waitcnt vmcnt(0)
	v_cmp_ne_u64_e32 vcc, s[8:9], v[2:3]
	s_cbranch_vccnz .LBB0_462
; %bb.463:                              ;   in Loop: Header=BB0_1 Depth=1
	s_add_i32 s8, s0, 0xe7
	s_mov_b32 s9, s1
	v_mov_b64_e32 v[2:3], s[8:9]
	global_store_dwordx2 v0, v[2:3], s[6:7] sc0 sc1
.LBB0_464:                              ;   Parent Loop BB0_1 Depth=1
                                        ; =>  This Inner Loop Header: Depth=2
	global_load_dwordx2 v[2:3], v0, s[4:5] sc0 sc1
	s_waitcnt vmcnt(0)
	v_cmp_ne_u64_e32 vcc, s[8:9], v[2:3]
	s_cbranch_vccnz .LBB0_464
; %bb.465:                              ;   in Loop: Header=BB0_1 Depth=1
	s_add_i32 s8, s0, 0xe8
	s_mov_b32 s9, s1
	v_mov_b64_e32 v[2:3], s[8:9]
	global_store_dwordx2 v0, v[2:3], s[6:7] sc0 sc1
.LBB0_466:                              ;   Parent Loop BB0_1 Depth=1
                                        ; =>  This Inner Loop Header: Depth=2
	global_load_dwordx2 v[2:3], v0, s[4:5] sc0 sc1
	s_waitcnt vmcnt(0)
	v_cmp_ne_u64_e32 vcc, s[8:9], v[2:3]
	s_cbranch_vccnz .LBB0_466
; %bb.467:                              ;   in Loop: Header=BB0_1 Depth=1
	s_add_i32 s8, s0, 0xe9
	s_mov_b32 s9, s1
	v_mov_b64_e32 v[2:3], s[8:9]
	global_store_dwordx2 v0, v[2:3], s[6:7] sc0 sc1
.LBB0_468:                              ;   Parent Loop BB0_1 Depth=1
                                        ; =>  This Inner Loop Header: Depth=2
	global_load_dwordx2 v[2:3], v0, s[4:5] sc0 sc1
	s_waitcnt vmcnt(0)
	v_cmp_ne_u64_e32 vcc, s[8:9], v[2:3]
	s_cbranch_vccnz .LBB0_468
; %bb.469:                              ;   in Loop: Header=BB0_1 Depth=1
	s_add_i32 s8, s0, 0xea
	s_mov_b32 s9, s1
	v_mov_b64_e32 v[2:3], s[8:9]
	global_store_dwordx2 v0, v[2:3], s[6:7] sc0 sc1
.LBB0_470:                              ;   Parent Loop BB0_1 Depth=1
                                        ; =>  This Inner Loop Header: Depth=2
	global_load_dwordx2 v[2:3], v0, s[4:5] sc0 sc1
	s_waitcnt vmcnt(0)
	v_cmp_ne_u64_e32 vcc, s[8:9], v[2:3]
	s_cbranch_vccnz .LBB0_470
; %bb.471:                              ;   in Loop: Header=BB0_1 Depth=1
	s_add_i32 s8, s0, 0xeb
	s_mov_b32 s9, s1
	v_mov_b64_e32 v[2:3], s[8:9]
	global_store_dwordx2 v0, v[2:3], s[6:7] sc0 sc1
.LBB0_472:                              ;   Parent Loop BB0_1 Depth=1
                                        ; =>  This Inner Loop Header: Depth=2
	global_load_dwordx2 v[2:3], v0, s[4:5] sc0 sc1
	s_waitcnt vmcnt(0)
	v_cmp_ne_u64_e32 vcc, s[8:9], v[2:3]
	s_cbranch_vccnz .LBB0_472
; %bb.473:                              ;   in Loop: Header=BB0_1 Depth=1
	s_add_i32 s8, s0, 0xec
	s_mov_b32 s9, s1
	v_mov_b64_e32 v[2:3], s[8:9]
	global_store_dwordx2 v0, v[2:3], s[6:7] sc0 sc1
.LBB0_474:                              ;   Parent Loop BB0_1 Depth=1
                                        ; =>  This Inner Loop Header: Depth=2
	global_load_dwordx2 v[2:3], v0, s[4:5] sc0 sc1
	s_waitcnt vmcnt(0)
	v_cmp_ne_u64_e32 vcc, s[8:9], v[2:3]
	s_cbranch_vccnz .LBB0_474
; %bb.475:                              ;   in Loop: Header=BB0_1 Depth=1
	s_add_i32 s8, s0, 0xed
	s_mov_b32 s9, s1
	v_mov_b64_e32 v[2:3], s[8:9]
	global_store_dwordx2 v0, v[2:3], s[6:7] sc0 sc1
.LBB0_476:                              ;   Parent Loop BB0_1 Depth=1
                                        ; =>  This Inner Loop Header: Depth=2
	global_load_dwordx2 v[2:3], v0, s[4:5] sc0 sc1
	s_waitcnt vmcnt(0)
	v_cmp_ne_u64_e32 vcc, s[8:9], v[2:3]
	s_cbranch_vccnz .LBB0_476
; %bb.477:                              ;   in Loop: Header=BB0_1 Depth=1
	s_add_i32 s8, s0, 0xee
	s_mov_b32 s9, s1
	v_mov_b64_e32 v[2:3], s[8:9]
	global_store_dwordx2 v0, v[2:3], s[6:7] sc0 sc1
.LBB0_478:                              ;   Parent Loop BB0_1 Depth=1
                                        ; =>  This Inner Loop Header: Depth=2
	global_load_dwordx2 v[2:3], v0, s[4:5] sc0 sc1
	s_waitcnt vmcnt(0)
	v_cmp_ne_u64_e32 vcc, s[8:9], v[2:3]
	s_cbranch_vccnz .LBB0_478
; %bb.479:                              ;   in Loop: Header=BB0_1 Depth=1
	s_add_i32 s8, s0, 0xef
	s_mov_b32 s9, s1
	v_mov_b64_e32 v[2:3], s[8:9]
	global_store_dwordx2 v0, v[2:3], s[6:7] sc0 sc1
.LBB0_480:                              ;   Parent Loop BB0_1 Depth=1
                                        ; =>  This Inner Loop Header: Depth=2
	global_load_dwordx2 v[2:3], v0, s[4:5] sc0 sc1
	s_waitcnt vmcnt(0)
	v_cmp_ne_u64_e32 vcc, s[8:9], v[2:3]
	s_cbranch_vccnz .LBB0_480
; %bb.481:                              ;   in Loop: Header=BB0_1 Depth=1
	s_add_i32 s8, s0, 0xf0
	s_mov_b32 s9, s1
	v_mov_b64_e32 v[2:3], s[8:9]
	global_store_dwordx2 v0, v[2:3], s[6:7] sc0 sc1
.LBB0_482:                              ;   Parent Loop BB0_1 Depth=1
                                        ; =>  This Inner Loop Header: Depth=2
	global_load_dwordx2 v[2:3], v0, s[4:5] sc0 sc1
	s_waitcnt vmcnt(0)
	v_cmp_ne_u64_e32 vcc, s[8:9], v[2:3]
	s_cbranch_vccnz .LBB0_482
; %bb.483:                              ;   in Loop: Header=BB0_1 Depth=1
	s_add_i32 s8, s0, 0xf1
	s_mov_b32 s9, s1
	v_mov_b64_e32 v[2:3], s[8:9]
	global_store_dwordx2 v0, v[2:3], s[6:7] sc0 sc1
.LBB0_484:                              ;   Parent Loop BB0_1 Depth=1
                                        ; =>  This Inner Loop Header: Depth=2
	global_load_dwordx2 v[2:3], v0, s[4:5] sc0 sc1
	s_waitcnt vmcnt(0)
	v_cmp_ne_u64_e32 vcc, s[8:9], v[2:3]
	s_cbranch_vccnz .LBB0_484
; %bb.485:                              ;   in Loop: Header=BB0_1 Depth=1
	s_add_i32 s8, s0, 0xf2
	s_mov_b32 s9, s1
	v_mov_b64_e32 v[2:3], s[8:9]
	global_store_dwordx2 v0, v[2:3], s[6:7] sc0 sc1
.LBB0_486:                              ;   Parent Loop BB0_1 Depth=1
                                        ; =>  This Inner Loop Header: Depth=2
	global_load_dwordx2 v[2:3], v0, s[4:5] sc0 sc1
	s_waitcnt vmcnt(0)
	v_cmp_ne_u64_e32 vcc, s[8:9], v[2:3]
	s_cbranch_vccnz .LBB0_486
; %bb.487:                              ;   in Loop: Header=BB0_1 Depth=1
	s_add_i32 s8, s0, 0xf3
	s_mov_b32 s9, s1
	v_mov_b64_e32 v[2:3], s[8:9]
	global_store_dwordx2 v0, v[2:3], s[6:7] sc0 sc1
.LBB0_488:                              ;   Parent Loop BB0_1 Depth=1
                                        ; =>  This Inner Loop Header: Depth=2
	global_load_dwordx2 v[2:3], v0, s[4:5] sc0 sc1
	s_waitcnt vmcnt(0)
	v_cmp_ne_u64_e32 vcc, s[8:9], v[2:3]
	s_cbranch_vccnz .LBB0_488
; %bb.489:                              ;   in Loop: Header=BB0_1 Depth=1
	s_add_i32 s8, s0, 0xf4
	s_mov_b32 s9, s1
	v_mov_b64_e32 v[2:3], s[8:9]
	global_store_dwordx2 v0, v[2:3], s[6:7] sc0 sc1
.LBB0_490:                              ;   Parent Loop BB0_1 Depth=1
                                        ; =>  This Inner Loop Header: Depth=2
	global_load_dwordx2 v[2:3], v0, s[4:5] sc0 sc1
	s_waitcnt vmcnt(0)
	v_cmp_ne_u64_e32 vcc, s[8:9], v[2:3]
	s_cbranch_vccnz .LBB0_490
; %bb.491:                              ;   in Loop: Header=BB0_1 Depth=1
	s_add_i32 s8, s0, 0xf5
	s_mov_b32 s9, s1
	v_mov_b64_e32 v[2:3], s[8:9]
	global_store_dwordx2 v0, v[2:3], s[6:7] sc0 sc1
.LBB0_492:                              ;   Parent Loop BB0_1 Depth=1
                                        ; =>  This Inner Loop Header: Depth=2
	global_load_dwordx2 v[2:3], v0, s[4:5] sc0 sc1
	s_waitcnt vmcnt(0)
	v_cmp_ne_u64_e32 vcc, s[8:9], v[2:3]
	s_cbranch_vccnz .LBB0_492
; %bb.493:                              ;   in Loop: Header=BB0_1 Depth=1
	s_add_i32 s8, s0, 0xf6
	s_mov_b32 s9, s1
	v_mov_b64_e32 v[2:3], s[8:9]
	global_store_dwordx2 v0, v[2:3], s[6:7] sc0 sc1
.LBB0_494:                              ;   Parent Loop BB0_1 Depth=1
                                        ; =>  This Inner Loop Header: Depth=2
	global_load_dwordx2 v[2:3], v0, s[4:5] sc0 sc1
	s_waitcnt vmcnt(0)
	v_cmp_ne_u64_e32 vcc, s[8:9], v[2:3]
	s_cbranch_vccnz .LBB0_494
; %bb.495:                              ;   in Loop: Header=BB0_1 Depth=1
	s_add_i32 s8, s0, 0xf7
	s_mov_b32 s9, s1
	v_mov_b64_e32 v[2:3], s[8:9]
	global_store_dwordx2 v0, v[2:3], s[6:7] sc0 sc1
.LBB0_496:                              ;   Parent Loop BB0_1 Depth=1
                                        ; =>  This Inner Loop Header: Depth=2
	global_load_dwordx2 v[2:3], v0, s[4:5] sc0 sc1
	s_waitcnt vmcnt(0)
	v_cmp_ne_u64_e32 vcc, s[8:9], v[2:3]
	s_cbranch_vccnz .LBB0_496
; %bb.497:                              ;   in Loop: Header=BB0_1 Depth=1
	s_add_i32 s8, s0, 0xf8
	s_mov_b32 s9, s1
	v_mov_b64_e32 v[2:3], s[8:9]
	global_store_dwordx2 v0, v[2:3], s[6:7] sc0 sc1
.LBB0_498:                              ;   Parent Loop BB0_1 Depth=1
                                        ; =>  This Inner Loop Header: Depth=2
	global_load_dwordx2 v[2:3], v0, s[4:5] sc0 sc1
	s_waitcnt vmcnt(0)
	v_cmp_ne_u64_e32 vcc, s[8:9], v[2:3]
	s_cbranch_vccnz .LBB0_498
; %bb.499:                              ;   in Loop: Header=BB0_1 Depth=1
	s_add_i32 s8, s0, 0xf9
	s_mov_b32 s9, s1
	v_mov_b64_e32 v[2:3], s[8:9]
	global_store_dwordx2 v0, v[2:3], s[6:7] sc0 sc1
.LBB0_500:                              ;   Parent Loop BB0_1 Depth=1
                                        ; =>  This Inner Loop Header: Depth=2
	global_load_dwordx2 v[2:3], v0, s[4:5] sc0 sc1
	s_waitcnt vmcnt(0)
	v_cmp_ne_u64_e32 vcc, s[8:9], v[2:3]
	s_cbranch_vccnz .LBB0_500
; %bb.501:                              ;   in Loop: Header=BB0_1 Depth=1
	s_add_i32 s8, s0, 0xfa
	s_mov_b32 s9, s1
	v_mov_b64_e32 v[2:3], s[8:9]
	global_store_dwordx2 v0, v[2:3], s[6:7] sc0 sc1
.LBB0_502:                              ;   Parent Loop BB0_1 Depth=1
                                        ; =>  This Inner Loop Header: Depth=2
	global_load_dwordx2 v[2:3], v0, s[4:5] sc0 sc1
	s_waitcnt vmcnt(0)
	v_cmp_ne_u64_e32 vcc, s[8:9], v[2:3]
	s_cbranch_vccnz .LBB0_502
; %bb.503:                              ;   in Loop: Header=BB0_1 Depth=1
	s_add_i32 s8, s0, 0xfb
	s_mov_b32 s9, s1
	v_mov_b64_e32 v[2:3], s[8:9]
	global_store_dwordx2 v0, v[2:3], s[6:7] sc0 sc1
.LBB0_504:                              ;   Parent Loop BB0_1 Depth=1
                                        ; =>  This Inner Loop Header: Depth=2
	global_load_dwordx2 v[2:3], v0, s[4:5] sc0 sc1
	s_waitcnt vmcnt(0)
	v_cmp_ne_u64_e32 vcc, s[8:9], v[2:3]
	s_cbranch_vccnz .LBB0_504
; %bb.505:                              ;   in Loop: Header=BB0_1 Depth=1
	s_add_i32 s8, s0, 0xfc
	s_mov_b32 s9, s1
	v_mov_b64_e32 v[2:3], s[8:9]
	global_store_dwordx2 v0, v[2:3], s[6:7] sc0 sc1
.LBB0_506:                              ;   Parent Loop BB0_1 Depth=1
                                        ; =>  This Inner Loop Header: Depth=2
	global_load_dwordx2 v[2:3], v0, s[4:5] sc0 sc1
	s_waitcnt vmcnt(0)
	v_cmp_ne_u64_e32 vcc, s[8:9], v[2:3]
	s_cbranch_vccnz .LBB0_506
; %bb.507:                              ;   in Loop: Header=BB0_1 Depth=1
	s_add_i32 s8, s0, 0xfd
	s_mov_b32 s9, s1
	v_mov_b64_e32 v[2:3], s[8:9]
	global_store_dwordx2 v0, v[2:3], s[6:7] sc0 sc1
.LBB0_508:                              ;   Parent Loop BB0_1 Depth=1
                                        ; =>  This Inner Loop Header: Depth=2
	global_load_dwordx2 v[2:3], v0, s[4:5] sc0 sc1
	s_waitcnt vmcnt(0)
	v_cmp_ne_u64_e32 vcc, s[8:9], v[2:3]
	s_cbranch_vccnz .LBB0_508
; %bb.509:                              ;   in Loop: Header=BB0_1 Depth=1
	s_add_i32 s8, s0, 0xfe
	s_mov_b32 s9, s1
	v_mov_b64_e32 v[2:3], s[8:9]
	global_store_dwordx2 v0, v[2:3], s[6:7] sc0 sc1
.LBB0_510:                              ;   Parent Loop BB0_1 Depth=1
                                        ; =>  This Inner Loop Header: Depth=2
	global_load_dwordx2 v[2:3], v0, s[4:5] sc0 sc1
	s_waitcnt vmcnt(0)
	v_cmp_ne_u64_e32 vcc, s[8:9], v[2:3]
	s_cbranch_vccnz .LBB0_510
; %bb.511:                              ;   in Loop: Header=BB0_1 Depth=1
	s_add_i32 s8, s0, 0xff
	s_mov_b32 s9, s1
	v_mov_b64_e32 v[2:3], s[8:9]
	global_store_dwordx2 v0, v[2:3], s[6:7] sc0 sc1
.LBB0_512:                              ;   Parent Loop BB0_1 Depth=1
                                        ; =>  This Inner Loop Header: Depth=2
	global_load_dwordx2 v[2:3], v0, s[4:5] sc0 sc1
	s_waitcnt vmcnt(0)
	v_cmp_ne_u64_e32 vcc, s[8:9], v[2:3]
	s_cbranch_vccnz .LBB0_512
; %bb.513:                              ;   in Loop: Header=BB0_1 Depth=1
	s_add_i32 s8, s0, 0x100
	s_mov_b32 s9, s1
	v_mov_b64_e32 v[2:3], s[8:9]
	global_store_dwordx2 v0, v[2:3], s[6:7] sc0 sc1
.LBB0_514:                              ;   Parent Loop BB0_1 Depth=1
                                        ; =>  This Inner Loop Header: Depth=2
	global_load_dwordx2 v[2:3], v0, s[4:5] sc0 sc1
	s_waitcnt vmcnt(0)
	v_cmp_ne_u64_e32 vcc, s[8:9], v[2:3]
	s_cbranch_vccnz .LBB0_514
; %bb.515:                              ;   in Loop: Header=BB0_1 Depth=1
	s_add_i32 s8, s0, 0x101
	s_mov_b32 s9, s1
	v_mov_b64_e32 v[2:3], s[8:9]
	global_store_dwordx2 v0, v[2:3], s[6:7] sc0 sc1
.LBB0_516:                              ;   Parent Loop BB0_1 Depth=1
                                        ; =>  This Inner Loop Header: Depth=2
	global_load_dwordx2 v[2:3], v0, s[4:5] sc0 sc1
	s_waitcnt vmcnt(0)
	v_cmp_ne_u64_e32 vcc, s[8:9], v[2:3]
	s_cbranch_vccnz .LBB0_516
; %bb.517:                              ;   in Loop: Header=BB0_1 Depth=1
	s_add_i32 s8, s0, 0x102
	s_mov_b32 s9, s1
	v_mov_b64_e32 v[2:3], s[8:9]
	global_store_dwordx2 v0, v[2:3], s[6:7] sc0 sc1
.LBB0_518:                              ;   Parent Loop BB0_1 Depth=1
                                        ; =>  This Inner Loop Header: Depth=2
	global_load_dwordx2 v[2:3], v0, s[4:5] sc0 sc1
	s_waitcnt vmcnt(0)
	v_cmp_ne_u64_e32 vcc, s[8:9], v[2:3]
	s_cbranch_vccnz .LBB0_518
; %bb.519:                              ;   in Loop: Header=BB0_1 Depth=1
	s_add_i32 s8, s0, 0x103
	s_mov_b32 s9, s1
	v_mov_b64_e32 v[2:3], s[8:9]
	global_store_dwordx2 v0, v[2:3], s[6:7] sc0 sc1
.LBB0_520:                              ;   Parent Loop BB0_1 Depth=1
                                        ; =>  This Inner Loop Header: Depth=2
	global_load_dwordx2 v[2:3], v0, s[4:5] sc0 sc1
	s_waitcnt vmcnt(0)
	v_cmp_ne_u64_e32 vcc, s[8:9], v[2:3]
	s_cbranch_vccnz .LBB0_520
; %bb.521:                              ;   in Loop: Header=BB0_1 Depth=1
	s_add_i32 s8, s0, 0x104
	s_mov_b32 s9, s1
	v_mov_b64_e32 v[2:3], s[8:9]
	global_store_dwordx2 v0, v[2:3], s[6:7] sc0 sc1
.LBB0_522:                              ;   Parent Loop BB0_1 Depth=1
                                        ; =>  This Inner Loop Header: Depth=2
	global_load_dwordx2 v[2:3], v0, s[4:5] sc0 sc1
	s_waitcnt vmcnt(0)
	v_cmp_ne_u64_e32 vcc, s[8:9], v[2:3]
	s_cbranch_vccnz .LBB0_522
; %bb.523:                              ;   in Loop: Header=BB0_1 Depth=1
	s_add_i32 s8, s0, 0x105
	s_mov_b32 s9, s1
	v_mov_b64_e32 v[2:3], s[8:9]
	global_store_dwordx2 v0, v[2:3], s[6:7] sc0 sc1
.LBB0_524:                              ;   Parent Loop BB0_1 Depth=1
                                        ; =>  This Inner Loop Header: Depth=2
	global_load_dwordx2 v[2:3], v0, s[4:5] sc0 sc1
	s_waitcnt vmcnt(0)
	v_cmp_ne_u64_e32 vcc, s[8:9], v[2:3]
	s_cbranch_vccnz .LBB0_524
; %bb.525:                              ;   in Loop: Header=BB0_1 Depth=1
	s_add_i32 s8, s0, 0x106
	s_mov_b32 s9, s1
	v_mov_b64_e32 v[2:3], s[8:9]
	global_store_dwordx2 v0, v[2:3], s[6:7] sc0 sc1
.LBB0_526:                              ;   Parent Loop BB0_1 Depth=1
                                        ; =>  This Inner Loop Header: Depth=2
	global_load_dwordx2 v[2:3], v0, s[4:5] sc0 sc1
	s_waitcnt vmcnt(0)
	v_cmp_ne_u64_e32 vcc, s[8:9], v[2:3]
	s_cbranch_vccnz .LBB0_526
; %bb.527:                              ;   in Loop: Header=BB0_1 Depth=1
	s_add_i32 s8, s0, 0x107
	s_mov_b32 s9, s1
	v_mov_b64_e32 v[2:3], s[8:9]
	global_store_dwordx2 v0, v[2:3], s[6:7] sc0 sc1
.LBB0_528:                              ;   Parent Loop BB0_1 Depth=1
                                        ; =>  This Inner Loop Header: Depth=2
	global_load_dwordx2 v[2:3], v0, s[4:5] sc0 sc1
	s_waitcnt vmcnt(0)
	v_cmp_ne_u64_e32 vcc, s[8:9], v[2:3]
	s_cbranch_vccnz .LBB0_528
; %bb.529:                              ;   in Loop: Header=BB0_1 Depth=1
	s_add_i32 s8, s0, 0x108
	s_mov_b32 s9, s1
	v_mov_b64_e32 v[2:3], s[8:9]
	global_store_dwordx2 v0, v[2:3], s[6:7] sc0 sc1
.LBB0_530:                              ;   Parent Loop BB0_1 Depth=1
                                        ; =>  This Inner Loop Header: Depth=2
	global_load_dwordx2 v[2:3], v0, s[4:5] sc0 sc1
	s_waitcnt vmcnt(0)
	v_cmp_ne_u64_e32 vcc, s[8:9], v[2:3]
	s_cbranch_vccnz .LBB0_530
; %bb.531:                              ;   in Loop: Header=BB0_1 Depth=1
	s_add_i32 s8, s0, 0x109
	s_mov_b32 s9, s1
	v_mov_b64_e32 v[2:3], s[8:9]
	global_store_dwordx2 v0, v[2:3], s[6:7] sc0 sc1
.LBB0_532:                              ;   Parent Loop BB0_1 Depth=1
                                        ; =>  This Inner Loop Header: Depth=2
	global_load_dwordx2 v[2:3], v0, s[4:5] sc0 sc1
	s_waitcnt vmcnt(0)
	v_cmp_ne_u64_e32 vcc, s[8:9], v[2:3]
	s_cbranch_vccnz .LBB0_532
; %bb.533:                              ;   in Loop: Header=BB0_1 Depth=1
	s_add_i32 s8, s0, 0x10a
	s_mov_b32 s9, s1
	v_mov_b64_e32 v[2:3], s[8:9]
	global_store_dwordx2 v0, v[2:3], s[6:7] sc0 sc1
.LBB0_534:                              ;   Parent Loop BB0_1 Depth=1
                                        ; =>  This Inner Loop Header: Depth=2
	global_load_dwordx2 v[2:3], v0, s[4:5] sc0 sc1
	s_waitcnt vmcnt(0)
	v_cmp_ne_u64_e32 vcc, s[8:9], v[2:3]
	s_cbranch_vccnz .LBB0_534
; %bb.535:                              ;   in Loop: Header=BB0_1 Depth=1
	s_add_i32 s8, s0, 0x10b
	s_mov_b32 s9, s1
	v_mov_b64_e32 v[2:3], s[8:9]
	global_store_dwordx2 v0, v[2:3], s[6:7] sc0 sc1
.LBB0_536:                              ;   Parent Loop BB0_1 Depth=1
                                        ; =>  This Inner Loop Header: Depth=2
	global_load_dwordx2 v[2:3], v0, s[4:5] sc0 sc1
	s_waitcnt vmcnt(0)
	v_cmp_ne_u64_e32 vcc, s[8:9], v[2:3]
	s_cbranch_vccnz .LBB0_536
; %bb.537:                              ;   in Loop: Header=BB0_1 Depth=1
	s_add_i32 s8, s0, 0x10c
	s_mov_b32 s9, s1
	v_mov_b64_e32 v[2:3], s[8:9]
	global_store_dwordx2 v0, v[2:3], s[6:7] sc0 sc1
.LBB0_538:                              ;   Parent Loop BB0_1 Depth=1
                                        ; =>  This Inner Loop Header: Depth=2
	global_load_dwordx2 v[2:3], v0, s[4:5] sc0 sc1
	s_waitcnt vmcnt(0)
	v_cmp_ne_u64_e32 vcc, s[8:9], v[2:3]
	s_cbranch_vccnz .LBB0_538
; %bb.539:                              ;   in Loop: Header=BB0_1 Depth=1
	s_add_i32 s8, s0, 0x10d
	s_mov_b32 s9, s1
	v_mov_b64_e32 v[2:3], s[8:9]
	global_store_dwordx2 v0, v[2:3], s[6:7] sc0 sc1
.LBB0_540:                              ;   Parent Loop BB0_1 Depth=1
                                        ; =>  This Inner Loop Header: Depth=2
	global_load_dwordx2 v[2:3], v0, s[4:5] sc0 sc1
	s_waitcnt vmcnt(0)
	v_cmp_ne_u64_e32 vcc, s[8:9], v[2:3]
	s_cbranch_vccnz .LBB0_540
; %bb.541:                              ;   in Loop: Header=BB0_1 Depth=1
	s_add_i32 s8, s0, 0x10e
	s_mov_b32 s9, s1
	v_mov_b64_e32 v[2:3], s[8:9]
	global_store_dwordx2 v0, v[2:3], s[6:7] sc0 sc1
.LBB0_542:                              ;   Parent Loop BB0_1 Depth=1
                                        ; =>  This Inner Loop Header: Depth=2
	global_load_dwordx2 v[2:3], v0, s[4:5] sc0 sc1
	s_waitcnt vmcnt(0)
	v_cmp_ne_u64_e32 vcc, s[8:9], v[2:3]
	s_cbranch_vccnz .LBB0_542
; %bb.543:                              ;   in Loop: Header=BB0_1 Depth=1
	s_add_i32 s8, s0, 0x10f
	s_mov_b32 s9, s1
	v_mov_b64_e32 v[2:3], s[8:9]
	global_store_dwordx2 v0, v[2:3], s[6:7] sc0 sc1
.LBB0_544:                              ;   Parent Loop BB0_1 Depth=1
                                        ; =>  This Inner Loop Header: Depth=2
	global_load_dwordx2 v[2:3], v0, s[4:5] sc0 sc1
	s_waitcnt vmcnt(0)
	v_cmp_ne_u64_e32 vcc, s[8:9], v[2:3]
	s_cbranch_vccnz .LBB0_544
; %bb.545:                              ;   in Loop: Header=BB0_1 Depth=1
	s_add_i32 s8, s0, 0x110
	s_mov_b32 s9, s1
	v_mov_b64_e32 v[2:3], s[8:9]
	global_store_dwordx2 v0, v[2:3], s[6:7] sc0 sc1
.LBB0_546:                              ;   Parent Loop BB0_1 Depth=1
                                        ; =>  This Inner Loop Header: Depth=2
	global_load_dwordx2 v[2:3], v0, s[4:5] sc0 sc1
	s_waitcnt vmcnt(0)
	v_cmp_ne_u64_e32 vcc, s[8:9], v[2:3]
	s_cbranch_vccnz .LBB0_546
; %bb.547:                              ;   in Loop: Header=BB0_1 Depth=1
	s_add_i32 s8, s0, 0x111
	s_mov_b32 s9, s1
	v_mov_b64_e32 v[2:3], s[8:9]
	global_store_dwordx2 v0, v[2:3], s[6:7] sc0 sc1
.LBB0_548:                              ;   Parent Loop BB0_1 Depth=1
                                        ; =>  This Inner Loop Header: Depth=2
	global_load_dwordx2 v[2:3], v0, s[4:5] sc0 sc1
	s_waitcnt vmcnt(0)
	v_cmp_ne_u64_e32 vcc, s[8:9], v[2:3]
	s_cbranch_vccnz .LBB0_548
; %bb.549:                              ;   in Loop: Header=BB0_1 Depth=1
	s_add_i32 s8, s0, 0x112
	s_mov_b32 s9, s1
	v_mov_b64_e32 v[2:3], s[8:9]
	global_store_dwordx2 v0, v[2:3], s[6:7] sc0 sc1
.LBB0_550:                              ;   Parent Loop BB0_1 Depth=1
                                        ; =>  This Inner Loop Header: Depth=2
	global_load_dwordx2 v[2:3], v0, s[4:5] sc0 sc1
	s_waitcnt vmcnt(0)
	v_cmp_ne_u64_e32 vcc, s[8:9], v[2:3]
	s_cbranch_vccnz .LBB0_550
; %bb.551:                              ;   in Loop: Header=BB0_1 Depth=1
	s_add_i32 s8, s0, 0x113
	s_mov_b32 s9, s1
	v_mov_b64_e32 v[2:3], s[8:9]
	global_store_dwordx2 v0, v[2:3], s[6:7] sc0 sc1
.LBB0_552:                              ;   Parent Loop BB0_1 Depth=1
                                        ; =>  This Inner Loop Header: Depth=2
	global_load_dwordx2 v[2:3], v0, s[4:5] sc0 sc1
	s_waitcnt vmcnt(0)
	v_cmp_ne_u64_e32 vcc, s[8:9], v[2:3]
	s_cbranch_vccnz .LBB0_552
; %bb.553:                              ;   in Loop: Header=BB0_1 Depth=1
	s_add_i32 s8, s0, 0x114
	s_mov_b32 s9, s1
	v_mov_b64_e32 v[2:3], s[8:9]
	global_store_dwordx2 v0, v[2:3], s[6:7] sc0 sc1
.LBB0_554:                              ;   Parent Loop BB0_1 Depth=1
                                        ; =>  This Inner Loop Header: Depth=2
	global_load_dwordx2 v[2:3], v0, s[4:5] sc0 sc1
	s_waitcnt vmcnt(0)
	v_cmp_ne_u64_e32 vcc, s[8:9], v[2:3]
	s_cbranch_vccnz .LBB0_554
; %bb.555:                              ;   in Loop: Header=BB0_1 Depth=1
	s_add_i32 s8, s0, 0x115
	s_mov_b32 s9, s1
	v_mov_b64_e32 v[2:3], s[8:9]
	global_store_dwordx2 v0, v[2:3], s[6:7] sc0 sc1
.LBB0_556:                              ;   Parent Loop BB0_1 Depth=1
                                        ; =>  This Inner Loop Header: Depth=2
	global_load_dwordx2 v[2:3], v0, s[4:5] sc0 sc1
	s_waitcnt vmcnt(0)
	v_cmp_ne_u64_e32 vcc, s[8:9], v[2:3]
	s_cbranch_vccnz .LBB0_556
; %bb.557:                              ;   in Loop: Header=BB0_1 Depth=1
	s_add_i32 s8, s0, 0x116
	s_mov_b32 s9, s1
	v_mov_b64_e32 v[2:3], s[8:9]
	global_store_dwordx2 v0, v[2:3], s[6:7] sc0 sc1
.LBB0_558:                              ;   Parent Loop BB0_1 Depth=1
                                        ; =>  This Inner Loop Header: Depth=2
	global_load_dwordx2 v[2:3], v0, s[4:5] sc0 sc1
	s_waitcnt vmcnt(0)
	v_cmp_ne_u64_e32 vcc, s[8:9], v[2:3]
	s_cbranch_vccnz .LBB0_558
; %bb.559:                              ;   in Loop: Header=BB0_1 Depth=1
	s_add_i32 s8, s0, 0x117
	s_mov_b32 s9, s1
	v_mov_b64_e32 v[2:3], s[8:9]
	global_store_dwordx2 v0, v[2:3], s[6:7] sc0 sc1
.LBB0_560:                              ;   Parent Loop BB0_1 Depth=1
                                        ; =>  This Inner Loop Header: Depth=2
	global_load_dwordx2 v[2:3], v0, s[4:5] sc0 sc1
	s_waitcnt vmcnt(0)
	v_cmp_ne_u64_e32 vcc, s[8:9], v[2:3]
	s_cbranch_vccnz .LBB0_560
; %bb.561:                              ;   in Loop: Header=BB0_1 Depth=1
	s_add_i32 s8, s0, 0x118
	s_mov_b32 s9, s1
	v_mov_b64_e32 v[2:3], s[8:9]
	global_store_dwordx2 v0, v[2:3], s[6:7] sc0 sc1
.LBB0_562:                              ;   Parent Loop BB0_1 Depth=1
                                        ; =>  This Inner Loop Header: Depth=2
	global_load_dwordx2 v[2:3], v0, s[4:5] sc0 sc1
	s_waitcnt vmcnt(0)
	v_cmp_ne_u64_e32 vcc, s[8:9], v[2:3]
	s_cbranch_vccnz .LBB0_562
; %bb.563:                              ;   in Loop: Header=BB0_1 Depth=1
	s_add_i32 s8, s0, 0x119
	s_mov_b32 s9, s1
	v_mov_b64_e32 v[2:3], s[8:9]
	global_store_dwordx2 v0, v[2:3], s[6:7] sc0 sc1
.LBB0_564:                              ;   Parent Loop BB0_1 Depth=1
                                        ; =>  This Inner Loop Header: Depth=2
	global_load_dwordx2 v[2:3], v0, s[4:5] sc0 sc1
	s_waitcnt vmcnt(0)
	v_cmp_ne_u64_e32 vcc, s[8:9], v[2:3]
	s_cbranch_vccnz .LBB0_564
; %bb.565:                              ;   in Loop: Header=BB0_1 Depth=1
	s_add_i32 s8, s0, 0x11a
	s_mov_b32 s9, s1
	v_mov_b64_e32 v[2:3], s[8:9]
	global_store_dwordx2 v0, v[2:3], s[6:7] sc0 sc1
.LBB0_566:                              ;   Parent Loop BB0_1 Depth=1
                                        ; =>  This Inner Loop Header: Depth=2
	global_load_dwordx2 v[2:3], v0, s[4:5] sc0 sc1
	s_waitcnt vmcnt(0)
	v_cmp_ne_u64_e32 vcc, s[8:9], v[2:3]
	s_cbranch_vccnz .LBB0_566
; %bb.567:                              ;   in Loop: Header=BB0_1 Depth=1
	s_add_i32 s8, s0, 0x11b
	s_mov_b32 s9, s1
	v_mov_b64_e32 v[2:3], s[8:9]
	global_store_dwordx2 v0, v[2:3], s[6:7] sc0 sc1
.LBB0_568:                              ;   Parent Loop BB0_1 Depth=1
                                        ; =>  This Inner Loop Header: Depth=2
	global_load_dwordx2 v[2:3], v0, s[4:5] sc0 sc1
	s_waitcnt vmcnt(0)
	v_cmp_ne_u64_e32 vcc, s[8:9], v[2:3]
	s_cbranch_vccnz .LBB0_568
; %bb.569:                              ;   in Loop: Header=BB0_1 Depth=1
	s_add_i32 s8, s0, 0x11c
	s_mov_b32 s9, s1
	v_mov_b64_e32 v[2:3], s[8:9]
	global_store_dwordx2 v0, v[2:3], s[6:7] sc0 sc1
.LBB0_570:                              ;   Parent Loop BB0_1 Depth=1
                                        ; =>  This Inner Loop Header: Depth=2
	global_load_dwordx2 v[2:3], v0, s[4:5] sc0 sc1
	s_waitcnt vmcnt(0)
	v_cmp_ne_u64_e32 vcc, s[8:9], v[2:3]
	s_cbranch_vccnz .LBB0_570
; %bb.571:                              ;   in Loop: Header=BB0_1 Depth=1
	s_add_i32 s8, s0, 0x11d
	s_mov_b32 s9, s1
	v_mov_b64_e32 v[2:3], s[8:9]
	global_store_dwordx2 v0, v[2:3], s[6:7] sc0 sc1
.LBB0_572:                              ;   Parent Loop BB0_1 Depth=1
                                        ; =>  This Inner Loop Header: Depth=2
	global_load_dwordx2 v[2:3], v0, s[4:5] sc0 sc1
	s_waitcnt vmcnt(0)
	v_cmp_ne_u64_e32 vcc, s[8:9], v[2:3]
	s_cbranch_vccnz .LBB0_572
; %bb.573:                              ;   in Loop: Header=BB0_1 Depth=1
	s_add_i32 s8, s0, 0x11e
	s_mov_b32 s9, s1
	v_mov_b64_e32 v[2:3], s[8:9]
	global_store_dwordx2 v0, v[2:3], s[6:7] sc0 sc1
.LBB0_574:                              ;   Parent Loop BB0_1 Depth=1
                                        ; =>  This Inner Loop Header: Depth=2
	global_load_dwordx2 v[2:3], v0, s[4:5] sc0 sc1
	s_waitcnt vmcnt(0)
	v_cmp_ne_u64_e32 vcc, s[8:9], v[2:3]
	s_cbranch_vccnz .LBB0_574
; %bb.575:                              ;   in Loop: Header=BB0_1 Depth=1
	s_add_i32 s8, s0, 0x11f
	s_mov_b32 s9, s1
	v_mov_b64_e32 v[2:3], s[8:9]
	global_store_dwordx2 v0, v[2:3], s[6:7] sc0 sc1
.LBB0_576:                              ;   Parent Loop BB0_1 Depth=1
                                        ; =>  This Inner Loop Header: Depth=2
	global_load_dwordx2 v[2:3], v0, s[4:5] sc0 sc1
	s_waitcnt vmcnt(0)
	v_cmp_ne_u64_e32 vcc, s[8:9], v[2:3]
	s_cbranch_vccnz .LBB0_576
; %bb.577:                              ;   in Loop: Header=BB0_1 Depth=1
	s_add_i32 s8, s0, 0x120
	s_mov_b32 s9, s1
	v_mov_b64_e32 v[2:3], s[8:9]
	global_store_dwordx2 v0, v[2:3], s[6:7] sc0 sc1
.LBB0_578:                              ;   Parent Loop BB0_1 Depth=1
                                        ; =>  This Inner Loop Header: Depth=2
	global_load_dwordx2 v[2:3], v0, s[4:5] sc0 sc1
	s_waitcnt vmcnt(0)
	v_cmp_ne_u64_e32 vcc, s[8:9], v[2:3]
	s_cbranch_vccnz .LBB0_578
; %bb.579:                              ;   in Loop: Header=BB0_1 Depth=1
	s_add_i32 s8, s0, 0x121
	s_mov_b32 s9, s1
	v_mov_b64_e32 v[2:3], s[8:9]
	global_store_dwordx2 v0, v[2:3], s[6:7] sc0 sc1
.LBB0_580:                              ;   Parent Loop BB0_1 Depth=1
                                        ; =>  This Inner Loop Header: Depth=2
	global_load_dwordx2 v[2:3], v0, s[4:5] sc0 sc1
	s_waitcnt vmcnt(0)
	v_cmp_ne_u64_e32 vcc, s[8:9], v[2:3]
	s_cbranch_vccnz .LBB0_580
; %bb.581:                              ;   in Loop: Header=BB0_1 Depth=1
	s_add_i32 s8, s0, 0x122
	s_mov_b32 s9, s1
	v_mov_b64_e32 v[2:3], s[8:9]
	global_store_dwordx2 v0, v[2:3], s[6:7] sc0 sc1
.LBB0_582:                              ;   Parent Loop BB0_1 Depth=1
                                        ; =>  This Inner Loop Header: Depth=2
	global_load_dwordx2 v[2:3], v0, s[4:5] sc0 sc1
	s_waitcnt vmcnt(0)
	v_cmp_ne_u64_e32 vcc, s[8:9], v[2:3]
	s_cbranch_vccnz .LBB0_582
; %bb.583:                              ;   in Loop: Header=BB0_1 Depth=1
	s_add_i32 s8, s0, 0x123
	s_mov_b32 s9, s1
	v_mov_b64_e32 v[2:3], s[8:9]
	global_store_dwordx2 v0, v[2:3], s[6:7] sc0 sc1
.LBB0_584:                              ;   Parent Loop BB0_1 Depth=1
                                        ; =>  This Inner Loop Header: Depth=2
	global_load_dwordx2 v[2:3], v0, s[4:5] sc0 sc1
	s_waitcnt vmcnt(0)
	v_cmp_ne_u64_e32 vcc, s[8:9], v[2:3]
	s_cbranch_vccnz .LBB0_584
; %bb.585:                              ;   in Loop: Header=BB0_1 Depth=1
	s_add_i32 s8, s0, 0x124
	s_mov_b32 s9, s1
	v_mov_b64_e32 v[2:3], s[8:9]
	global_store_dwordx2 v0, v[2:3], s[6:7] sc0 sc1
.LBB0_586:                              ;   Parent Loop BB0_1 Depth=1
                                        ; =>  This Inner Loop Header: Depth=2
	global_load_dwordx2 v[2:3], v0, s[4:5] sc0 sc1
	s_waitcnt vmcnt(0)
	v_cmp_ne_u64_e32 vcc, s[8:9], v[2:3]
	s_cbranch_vccnz .LBB0_586
; %bb.587:                              ;   in Loop: Header=BB0_1 Depth=1
	s_add_i32 s8, s0, 0x125
	s_mov_b32 s9, s1
	v_mov_b64_e32 v[2:3], s[8:9]
	global_store_dwordx2 v0, v[2:3], s[6:7] sc0 sc1
.LBB0_588:                              ;   Parent Loop BB0_1 Depth=1
                                        ; =>  This Inner Loop Header: Depth=2
	global_load_dwordx2 v[2:3], v0, s[4:5] sc0 sc1
	s_waitcnt vmcnt(0)
	v_cmp_ne_u64_e32 vcc, s[8:9], v[2:3]
	s_cbranch_vccnz .LBB0_588
; %bb.589:                              ;   in Loop: Header=BB0_1 Depth=1
	s_add_i32 s8, s0, 0x126
	s_mov_b32 s9, s1
	v_mov_b64_e32 v[2:3], s[8:9]
	global_store_dwordx2 v0, v[2:3], s[6:7] sc0 sc1
.LBB0_590:                              ;   Parent Loop BB0_1 Depth=1
                                        ; =>  This Inner Loop Header: Depth=2
	global_load_dwordx2 v[2:3], v0, s[4:5] sc0 sc1
	s_waitcnt vmcnt(0)
	v_cmp_ne_u64_e32 vcc, s[8:9], v[2:3]
	s_cbranch_vccnz .LBB0_590
; %bb.591:                              ;   in Loop: Header=BB0_1 Depth=1
	s_add_i32 s8, s0, 0x127
	s_mov_b32 s9, s1
	v_mov_b64_e32 v[2:3], s[8:9]
	global_store_dwordx2 v0, v[2:3], s[6:7] sc0 sc1
.LBB0_592:                              ;   Parent Loop BB0_1 Depth=1
                                        ; =>  This Inner Loop Header: Depth=2
	global_load_dwordx2 v[2:3], v0, s[4:5] sc0 sc1
	s_waitcnt vmcnt(0)
	v_cmp_ne_u64_e32 vcc, s[8:9], v[2:3]
	s_cbranch_vccnz .LBB0_592
; %bb.593:                              ;   in Loop: Header=BB0_1 Depth=1
	s_add_i32 s8, s0, 0x128
	s_mov_b32 s9, s1
	v_mov_b64_e32 v[2:3], s[8:9]
	global_store_dwordx2 v0, v[2:3], s[6:7] sc0 sc1
.LBB0_594:                              ;   Parent Loop BB0_1 Depth=1
                                        ; =>  This Inner Loop Header: Depth=2
	global_load_dwordx2 v[2:3], v0, s[4:5] sc0 sc1
	s_waitcnt vmcnt(0)
	v_cmp_ne_u64_e32 vcc, s[8:9], v[2:3]
	s_cbranch_vccnz .LBB0_594
; %bb.595:                              ;   in Loop: Header=BB0_1 Depth=1
	s_add_i32 s8, s0, 0x129
	s_mov_b32 s9, s1
	v_mov_b64_e32 v[2:3], s[8:9]
	global_store_dwordx2 v0, v[2:3], s[6:7] sc0 sc1
.LBB0_596:                              ;   Parent Loop BB0_1 Depth=1
                                        ; =>  This Inner Loop Header: Depth=2
	global_load_dwordx2 v[2:3], v0, s[4:5] sc0 sc1
	s_waitcnt vmcnt(0)
	v_cmp_ne_u64_e32 vcc, s[8:9], v[2:3]
	s_cbranch_vccnz .LBB0_596
; %bb.597:                              ;   in Loop: Header=BB0_1 Depth=1
	s_add_i32 s8, s0, 0x12a
	s_mov_b32 s9, s1
	v_mov_b64_e32 v[2:3], s[8:9]
	global_store_dwordx2 v0, v[2:3], s[6:7] sc0 sc1
.LBB0_598:                              ;   Parent Loop BB0_1 Depth=1
                                        ; =>  This Inner Loop Header: Depth=2
	global_load_dwordx2 v[2:3], v0, s[4:5] sc0 sc1
	s_waitcnt vmcnt(0)
	v_cmp_ne_u64_e32 vcc, s[8:9], v[2:3]
	s_cbranch_vccnz .LBB0_598
; %bb.599:                              ;   in Loop: Header=BB0_1 Depth=1
	s_add_i32 s8, s0, 0x12b
	s_mov_b32 s9, s1
	v_mov_b64_e32 v[2:3], s[8:9]
	global_store_dwordx2 v0, v[2:3], s[6:7] sc0 sc1
.LBB0_600:                              ;   Parent Loop BB0_1 Depth=1
                                        ; =>  This Inner Loop Header: Depth=2
	global_load_dwordx2 v[2:3], v0, s[4:5] sc0 sc1
	s_waitcnt vmcnt(0)
	v_cmp_ne_u64_e32 vcc, s[8:9], v[2:3]
	s_cbranch_vccnz .LBB0_600
; %bb.601:                              ;   in Loop: Header=BB0_1 Depth=1
	s_add_i32 s8, s0, 0x12c
	s_mov_b32 s9, s1
	v_mov_b64_e32 v[2:3], s[8:9]
	global_store_dwordx2 v0, v[2:3], s[6:7] sc0 sc1
.LBB0_602:                              ;   Parent Loop BB0_1 Depth=1
                                        ; =>  This Inner Loop Header: Depth=2
	global_load_dwordx2 v[2:3], v0, s[4:5] sc0 sc1
	s_waitcnt vmcnt(0)
	v_cmp_ne_u64_e32 vcc, s[8:9], v[2:3]
	s_cbranch_vccnz .LBB0_602
; %bb.603:                              ;   in Loop: Header=BB0_1 Depth=1
	s_add_i32 s8, s0, 0x12d
	s_mov_b32 s9, s1
	v_mov_b64_e32 v[2:3], s[8:9]
	global_store_dwordx2 v0, v[2:3], s[6:7] sc0 sc1
.LBB0_604:                              ;   Parent Loop BB0_1 Depth=1
                                        ; =>  This Inner Loop Header: Depth=2
	global_load_dwordx2 v[2:3], v0, s[4:5] sc0 sc1
	s_waitcnt vmcnt(0)
	v_cmp_ne_u64_e32 vcc, s[8:9], v[2:3]
	s_cbranch_vccnz .LBB0_604
; %bb.605:                              ;   in Loop: Header=BB0_1 Depth=1
	s_add_i32 s8, s0, 0x12e
	s_mov_b32 s9, s1
	v_mov_b64_e32 v[2:3], s[8:9]
	global_store_dwordx2 v0, v[2:3], s[6:7] sc0 sc1
.LBB0_606:                              ;   Parent Loop BB0_1 Depth=1
                                        ; =>  This Inner Loop Header: Depth=2
	global_load_dwordx2 v[2:3], v0, s[4:5] sc0 sc1
	s_waitcnt vmcnt(0)
	v_cmp_ne_u64_e32 vcc, s[8:9], v[2:3]
	s_cbranch_vccnz .LBB0_606
; %bb.607:                              ;   in Loop: Header=BB0_1 Depth=1
	s_add_i32 s8, s0, 0x12f
	s_mov_b32 s9, s1
	v_mov_b64_e32 v[2:3], s[8:9]
	global_store_dwordx2 v0, v[2:3], s[6:7] sc0 sc1
.LBB0_608:                              ;   Parent Loop BB0_1 Depth=1
                                        ; =>  This Inner Loop Header: Depth=2
	global_load_dwordx2 v[2:3], v0, s[4:5] sc0 sc1
	s_waitcnt vmcnt(0)
	v_cmp_ne_u64_e32 vcc, s[8:9], v[2:3]
	s_cbranch_vccnz .LBB0_608
; %bb.609:                              ;   in Loop: Header=BB0_1 Depth=1
	s_add_i32 s8, s0, 0x130
	s_mov_b32 s9, s1
	v_mov_b64_e32 v[2:3], s[8:9]
	global_store_dwordx2 v0, v[2:3], s[6:7] sc0 sc1
.LBB0_610:                              ;   Parent Loop BB0_1 Depth=1
                                        ; =>  This Inner Loop Header: Depth=2
	global_load_dwordx2 v[2:3], v0, s[4:5] sc0 sc1
	s_waitcnt vmcnt(0)
	v_cmp_ne_u64_e32 vcc, s[8:9], v[2:3]
	s_cbranch_vccnz .LBB0_610
; %bb.611:                              ;   in Loop: Header=BB0_1 Depth=1
	s_add_i32 s8, s0, 0x131
	s_mov_b32 s9, s1
	v_mov_b64_e32 v[2:3], s[8:9]
	global_store_dwordx2 v0, v[2:3], s[6:7] sc0 sc1
.LBB0_612:                              ;   Parent Loop BB0_1 Depth=1
                                        ; =>  This Inner Loop Header: Depth=2
	global_load_dwordx2 v[2:3], v0, s[4:5] sc0 sc1
	s_waitcnt vmcnt(0)
	v_cmp_ne_u64_e32 vcc, s[8:9], v[2:3]
	s_cbranch_vccnz .LBB0_612
; %bb.613:                              ;   in Loop: Header=BB0_1 Depth=1
	s_add_i32 s8, s0, 0x132
	s_mov_b32 s9, s1
	v_mov_b64_e32 v[2:3], s[8:9]
	global_store_dwordx2 v0, v[2:3], s[6:7] sc0 sc1
.LBB0_614:                              ;   Parent Loop BB0_1 Depth=1
                                        ; =>  This Inner Loop Header: Depth=2
	global_load_dwordx2 v[2:3], v0, s[4:5] sc0 sc1
	s_waitcnt vmcnt(0)
	v_cmp_ne_u64_e32 vcc, s[8:9], v[2:3]
	s_cbranch_vccnz .LBB0_614
; %bb.615:                              ;   in Loop: Header=BB0_1 Depth=1
	s_add_i32 s8, s0, 0x133
	s_mov_b32 s9, s1
	v_mov_b64_e32 v[2:3], s[8:9]
	global_store_dwordx2 v0, v[2:3], s[6:7] sc0 sc1
.LBB0_616:                              ;   Parent Loop BB0_1 Depth=1
                                        ; =>  This Inner Loop Header: Depth=2
	global_load_dwordx2 v[2:3], v0, s[4:5] sc0 sc1
	s_waitcnt vmcnt(0)
	v_cmp_ne_u64_e32 vcc, s[8:9], v[2:3]
	s_cbranch_vccnz .LBB0_616
; %bb.617:                              ;   in Loop: Header=BB0_1 Depth=1
	s_add_i32 s8, s0, 0x134
	s_mov_b32 s9, s1
	v_mov_b64_e32 v[2:3], s[8:9]
	global_store_dwordx2 v0, v[2:3], s[6:7] sc0 sc1
.LBB0_618:                              ;   Parent Loop BB0_1 Depth=1
                                        ; =>  This Inner Loop Header: Depth=2
	global_load_dwordx2 v[2:3], v0, s[4:5] sc0 sc1
	s_waitcnt vmcnt(0)
	v_cmp_ne_u64_e32 vcc, s[8:9], v[2:3]
	s_cbranch_vccnz .LBB0_618
; %bb.619:                              ;   in Loop: Header=BB0_1 Depth=1
	s_add_i32 s8, s0, 0x135
	s_mov_b32 s9, s1
	v_mov_b64_e32 v[2:3], s[8:9]
	global_store_dwordx2 v0, v[2:3], s[6:7] sc0 sc1
.LBB0_620:                              ;   Parent Loop BB0_1 Depth=1
                                        ; =>  This Inner Loop Header: Depth=2
	global_load_dwordx2 v[2:3], v0, s[4:5] sc0 sc1
	s_waitcnt vmcnt(0)
	v_cmp_ne_u64_e32 vcc, s[8:9], v[2:3]
	s_cbranch_vccnz .LBB0_620
; %bb.621:                              ;   in Loop: Header=BB0_1 Depth=1
	s_add_i32 s8, s0, 0x136
	s_mov_b32 s9, s1
	v_mov_b64_e32 v[2:3], s[8:9]
	global_store_dwordx2 v0, v[2:3], s[6:7] sc0 sc1
.LBB0_622:                              ;   Parent Loop BB0_1 Depth=1
                                        ; =>  This Inner Loop Header: Depth=2
	global_load_dwordx2 v[2:3], v0, s[4:5] sc0 sc1
	s_waitcnt vmcnt(0)
	v_cmp_ne_u64_e32 vcc, s[8:9], v[2:3]
	s_cbranch_vccnz .LBB0_622
; %bb.623:                              ;   in Loop: Header=BB0_1 Depth=1
	s_add_i32 s8, s0, 0x137
	s_mov_b32 s9, s1
	v_mov_b64_e32 v[2:3], s[8:9]
	global_store_dwordx2 v0, v[2:3], s[6:7] sc0 sc1
.LBB0_624:                              ;   Parent Loop BB0_1 Depth=1
                                        ; =>  This Inner Loop Header: Depth=2
	global_load_dwordx2 v[2:3], v0, s[4:5] sc0 sc1
	s_waitcnt vmcnt(0)
	v_cmp_ne_u64_e32 vcc, s[8:9], v[2:3]
	s_cbranch_vccnz .LBB0_624
; %bb.625:                              ;   in Loop: Header=BB0_1 Depth=1
	s_add_i32 s8, s0, 0x138
	s_mov_b32 s9, s1
	v_mov_b64_e32 v[2:3], s[8:9]
	global_store_dwordx2 v0, v[2:3], s[6:7] sc0 sc1
.LBB0_626:                              ;   Parent Loop BB0_1 Depth=1
                                        ; =>  This Inner Loop Header: Depth=2
	global_load_dwordx2 v[2:3], v0, s[4:5] sc0 sc1
	s_waitcnt vmcnt(0)
	v_cmp_ne_u64_e32 vcc, s[8:9], v[2:3]
	s_cbranch_vccnz .LBB0_626
; %bb.627:                              ;   in Loop: Header=BB0_1 Depth=1
	s_add_i32 s8, s0, 0x139
	s_mov_b32 s9, s1
	v_mov_b64_e32 v[2:3], s[8:9]
	global_store_dwordx2 v0, v[2:3], s[6:7] sc0 sc1
.LBB0_628:                              ;   Parent Loop BB0_1 Depth=1
                                        ; =>  This Inner Loop Header: Depth=2
	global_load_dwordx2 v[2:3], v0, s[4:5] sc0 sc1
	s_waitcnt vmcnt(0)
	v_cmp_ne_u64_e32 vcc, s[8:9], v[2:3]
	s_cbranch_vccnz .LBB0_628
; %bb.629:                              ;   in Loop: Header=BB0_1 Depth=1
	s_add_i32 s8, s0, 0x13a
	s_mov_b32 s9, s1
	v_mov_b64_e32 v[2:3], s[8:9]
	global_store_dwordx2 v0, v[2:3], s[6:7] sc0 sc1
.LBB0_630:                              ;   Parent Loop BB0_1 Depth=1
                                        ; =>  This Inner Loop Header: Depth=2
	global_load_dwordx2 v[2:3], v0, s[4:5] sc0 sc1
	s_waitcnt vmcnt(0)
	v_cmp_ne_u64_e32 vcc, s[8:9], v[2:3]
	s_cbranch_vccnz .LBB0_630
; %bb.631:                              ;   in Loop: Header=BB0_1 Depth=1
	s_add_i32 s8, s0, 0x13b
	s_mov_b32 s9, s1
	v_mov_b64_e32 v[2:3], s[8:9]
	global_store_dwordx2 v0, v[2:3], s[6:7] sc0 sc1
.LBB0_632:                              ;   Parent Loop BB0_1 Depth=1
                                        ; =>  This Inner Loop Header: Depth=2
	global_load_dwordx2 v[2:3], v0, s[4:5] sc0 sc1
	s_waitcnt vmcnt(0)
	v_cmp_ne_u64_e32 vcc, s[8:9], v[2:3]
	s_cbranch_vccnz .LBB0_632
; %bb.633:                              ;   in Loop: Header=BB0_1 Depth=1
	s_add_i32 s8, s0, 0x13c
	s_mov_b32 s9, s1
	v_mov_b64_e32 v[2:3], s[8:9]
	global_store_dwordx2 v0, v[2:3], s[6:7] sc0 sc1
.LBB0_634:                              ;   Parent Loop BB0_1 Depth=1
                                        ; =>  This Inner Loop Header: Depth=2
	global_load_dwordx2 v[2:3], v0, s[4:5] sc0 sc1
	s_waitcnt vmcnt(0)
	v_cmp_ne_u64_e32 vcc, s[8:9], v[2:3]
	s_cbranch_vccnz .LBB0_634
; %bb.635:                              ;   in Loop: Header=BB0_1 Depth=1
	s_add_i32 s8, s0, 0x13d
	s_mov_b32 s9, s1
	v_mov_b64_e32 v[2:3], s[8:9]
	global_store_dwordx2 v0, v[2:3], s[6:7] sc0 sc1
.LBB0_636:                              ;   Parent Loop BB0_1 Depth=1
                                        ; =>  This Inner Loop Header: Depth=2
	global_load_dwordx2 v[2:3], v0, s[4:5] sc0 sc1
	s_waitcnt vmcnt(0)
	v_cmp_ne_u64_e32 vcc, s[8:9], v[2:3]
	s_cbranch_vccnz .LBB0_636
; %bb.637:                              ;   in Loop: Header=BB0_1 Depth=1
	s_add_i32 s8, s0, 0x13e
	s_mov_b32 s9, s1
	v_mov_b64_e32 v[2:3], s[8:9]
	global_store_dwordx2 v0, v[2:3], s[6:7] sc0 sc1
.LBB0_638:                              ;   Parent Loop BB0_1 Depth=1
                                        ; =>  This Inner Loop Header: Depth=2
	global_load_dwordx2 v[2:3], v0, s[4:5] sc0 sc1
	s_waitcnt vmcnt(0)
	v_cmp_ne_u64_e32 vcc, s[8:9], v[2:3]
	s_cbranch_vccnz .LBB0_638
; %bb.639:                              ;   in Loop: Header=BB0_1 Depth=1
	s_add_i32 s8, s0, 0x13f
	s_mov_b32 s9, s1
	v_mov_b64_e32 v[2:3], s[8:9]
	global_store_dwordx2 v0, v[2:3], s[6:7] sc0 sc1
.LBB0_640:                              ;   Parent Loop BB0_1 Depth=1
                                        ; =>  This Inner Loop Header: Depth=2
	global_load_dwordx2 v[2:3], v0, s[4:5] sc0 sc1
	s_waitcnt vmcnt(0)
	v_cmp_ne_u64_e32 vcc, s[8:9], v[2:3]
	s_cbranch_vccnz .LBB0_640
; %bb.641:                              ;   in Loop: Header=BB0_1 Depth=1
	s_add_i32 s8, s0, 0x140
	s_mov_b32 s9, s1
	v_mov_b64_e32 v[2:3], s[8:9]
	global_store_dwordx2 v0, v[2:3], s[6:7] sc0 sc1
.LBB0_642:                              ;   Parent Loop BB0_1 Depth=1
                                        ; =>  This Inner Loop Header: Depth=2
	global_load_dwordx2 v[2:3], v0, s[4:5] sc0 sc1
	s_waitcnt vmcnt(0)
	v_cmp_ne_u64_e32 vcc, s[8:9], v[2:3]
	s_cbranch_vccnz .LBB0_642
; %bb.643:                              ;   in Loop: Header=BB0_1 Depth=1
	s_add_i32 s8, s0, 0x141
	s_mov_b32 s9, s1
	v_mov_b64_e32 v[2:3], s[8:9]
	global_store_dwordx2 v0, v[2:3], s[6:7] sc0 sc1
.LBB0_644:                              ;   Parent Loop BB0_1 Depth=1
                                        ; =>  This Inner Loop Header: Depth=2
	global_load_dwordx2 v[2:3], v0, s[4:5] sc0 sc1
	s_waitcnt vmcnt(0)
	v_cmp_ne_u64_e32 vcc, s[8:9], v[2:3]
	s_cbranch_vccnz .LBB0_644
; %bb.645:                              ;   in Loop: Header=BB0_1 Depth=1
	s_add_i32 s8, s0, 0x142
	s_mov_b32 s9, s1
	v_mov_b64_e32 v[2:3], s[8:9]
	global_store_dwordx2 v0, v[2:3], s[6:7] sc0 sc1
.LBB0_646:                              ;   Parent Loop BB0_1 Depth=1
                                        ; =>  This Inner Loop Header: Depth=2
	global_load_dwordx2 v[2:3], v0, s[4:5] sc0 sc1
	s_waitcnt vmcnt(0)
	v_cmp_ne_u64_e32 vcc, s[8:9], v[2:3]
	s_cbranch_vccnz .LBB0_646
; %bb.647:                              ;   in Loop: Header=BB0_1 Depth=1
	s_add_i32 s8, s0, 0x143
	s_mov_b32 s9, s1
	v_mov_b64_e32 v[2:3], s[8:9]
	global_store_dwordx2 v0, v[2:3], s[6:7] sc0 sc1
.LBB0_648:                              ;   Parent Loop BB0_1 Depth=1
                                        ; =>  This Inner Loop Header: Depth=2
	global_load_dwordx2 v[2:3], v0, s[4:5] sc0 sc1
	s_waitcnt vmcnt(0)
	v_cmp_ne_u64_e32 vcc, s[8:9], v[2:3]
	s_cbranch_vccnz .LBB0_648
; %bb.649:                              ;   in Loop: Header=BB0_1 Depth=1
	s_add_i32 s8, s0, 0x144
	s_mov_b32 s9, s1
	v_mov_b64_e32 v[2:3], s[8:9]
	global_store_dwordx2 v0, v[2:3], s[6:7] sc0 sc1
.LBB0_650:                              ;   Parent Loop BB0_1 Depth=1
                                        ; =>  This Inner Loop Header: Depth=2
	global_load_dwordx2 v[2:3], v0, s[4:5] sc0 sc1
	s_waitcnt vmcnt(0)
	v_cmp_ne_u64_e32 vcc, s[8:9], v[2:3]
	s_cbranch_vccnz .LBB0_650
; %bb.651:                              ;   in Loop: Header=BB0_1 Depth=1
	s_add_i32 s8, s0, 0x145
	s_mov_b32 s9, s1
	v_mov_b64_e32 v[2:3], s[8:9]
	global_store_dwordx2 v0, v[2:3], s[6:7] sc0 sc1
.LBB0_652:                              ;   Parent Loop BB0_1 Depth=1
                                        ; =>  This Inner Loop Header: Depth=2
	global_load_dwordx2 v[2:3], v0, s[4:5] sc0 sc1
	s_waitcnt vmcnt(0)
	v_cmp_ne_u64_e32 vcc, s[8:9], v[2:3]
	s_cbranch_vccnz .LBB0_652
; %bb.653:                              ;   in Loop: Header=BB0_1 Depth=1
	s_add_i32 s8, s0, 0x146
	s_mov_b32 s9, s1
	v_mov_b64_e32 v[2:3], s[8:9]
	global_store_dwordx2 v0, v[2:3], s[6:7] sc0 sc1
.LBB0_654:                              ;   Parent Loop BB0_1 Depth=1
                                        ; =>  This Inner Loop Header: Depth=2
	global_load_dwordx2 v[2:3], v0, s[4:5] sc0 sc1
	s_waitcnt vmcnt(0)
	v_cmp_ne_u64_e32 vcc, s[8:9], v[2:3]
	s_cbranch_vccnz .LBB0_654
; %bb.655:                              ;   in Loop: Header=BB0_1 Depth=1
	s_add_i32 s8, s0, 0x147
	s_mov_b32 s9, s1
	v_mov_b64_e32 v[2:3], s[8:9]
	global_store_dwordx2 v0, v[2:3], s[6:7] sc0 sc1
.LBB0_656:                              ;   Parent Loop BB0_1 Depth=1
                                        ; =>  This Inner Loop Header: Depth=2
	global_load_dwordx2 v[2:3], v0, s[4:5] sc0 sc1
	s_waitcnt vmcnt(0)
	v_cmp_ne_u64_e32 vcc, s[8:9], v[2:3]
	s_cbranch_vccnz .LBB0_656
; %bb.657:                              ;   in Loop: Header=BB0_1 Depth=1
	s_add_i32 s8, s0, 0x148
	s_mov_b32 s9, s1
	v_mov_b64_e32 v[2:3], s[8:9]
	global_store_dwordx2 v0, v[2:3], s[6:7] sc0 sc1
.LBB0_658:                              ;   Parent Loop BB0_1 Depth=1
                                        ; =>  This Inner Loop Header: Depth=2
	global_load_dwordx2 v[2:3], v0, s[4:5] sc0 sc1
	s_waitcnt vmcnt(0)
	v_cmp_ne_u64_e32 vcc, s[8:9], v[2:3]
	s_cbranch_vccnz .LBB0_658
; %bb.659:                              ;   in Loop: Header=BB0_1 Depth=1
	s_add_i32 s8, s0, 0x149
	s_mov_b32 s9, s1
	v_mov_b64_e32 v[2:3], s[8:9]
	global_store_dwordx2 v0, v[2:3], s[6:7] sc0 sc1
.LBB0_660:                              ;   Parent Loop BB0_1 Depth=1
                                        ; =>  This Inner Loop Header: Depth=2
	global_load_dwordx2 v[2:3], v0, s[4:5] sc0 sc1
	s_waitcnt vmcnt(0)
	v_cmp_ne_u64_e32 vcc, s[8:9], v[2:3]
	s_cbranch_vccnz .LBB0_660
; %bb.661:                              ;   in Loop: Header=BB0_1 Depth=1
	s_add_i32 s8, s0, 0x14a
	s_mov_b32 s9, s1
	v_mov_b64_e32 v[2:3], s[8:9]
	global_store_dwordx2 v0, v[2:3], s[6:7] sc0 sc1
.LBB0_662:                              ;   Parent Loop BB0_1 Depth=1
                                        ; =>  This Inner Loop Header: Depth=2
	global_load_dwordx2 v[2:3], v0, s[4:5] sc0 sc1
	s_waitcnt vmcnt(0)
	v_cmp_ne_u64_e32 vcc, s[8:9], v[2:3]
	s_cbranch_vccnz .LBB0_662
; %bb.663:                              ;   in Loop: Header=BB0_1 Depth=1
	s_add_i32 s8, s0, 0x14b
	s_mov_b32 s9, s1
	v_mov_b64_e32 v[2:3], s[8:9]
	global_store_dwordx2 v0, v[2:3], s[6:7] sc0 sc1
.LBB0_664:                              ;   Parent Loop BB0_1 Depth=1
                                        ; =>  This Inner Loop Header: Depth=2
	global_load_dwordx2 v[2:3], v0, s[4:5] sc0 sc1
	s_waitcnt vmcnt(0)
	v_cmp_ne_u64_e32 vcc, s[8:9], v[2:3]
	s_cbranch_vccnz .LBB0_664
; %bb.665:                              ;   in Loop: Header=BB0_1 Depth=1
	s_add_i32 s8, s0, 0x14c
	s_mov_b32 s9, s1
	v_mov_b64_e32 v[2:3], s[8:9]
	global_store_dwordx2 v0, v[2:3], s[6:7] sc0 sc1
.LBB0_666:                              ;   Parent Loop BB0_1 Depth=1
                                        ; =>  This Inner Loop Header: Depth=2
	global_load_dwordx2 v[2:3], v0, s[4:5] sc0 sc1
	s_waitcnt vmcnt(0)
	v_cmp_ne_u64_e32 vcc, s[8:9], v[2:3]
	s_cbranch_vccnz .LBB0_666
; %bb.667:                              ;   in Loop: Header=BB0_1 Depth=1
	s_add_i32 s8, s0, 0x14d
	s_mov_b32 s9, s1
	v_mov_b64_e32 v[2:3], s[8:9]
	global_store_dwordx2 v0, v[2:3], s[6:7] sc0 sc1
.LBB0_668:                              ;   Parent Loop BB0_1 Depth=1
                                        ; =>  This Inner Loop Header: Depth=2
	global_load_dwordx2 v[2:3], v0, s[4:5] sc0 sc1
	s_waitcnt vmcnt(0)
	v_cmp_ne_u64_e32 vcc, s[8:9], v[2:3]
	s_cbranch_vccnz .LBB0_668
; %bb.669:                              ;   in Loop: Header=BB0_1 Depth=1
	s_add_i32 s8, s0, 0x14e
	s_mov_b32 s9, s1
	v_mov_b64_e32 v[2:3], s[8:9]
	global_store_dwordx2 v0, v[2:3], s[6:7] sc0 sc1
.LBB0_670:                              ;   Parent Loop BB0_1 Depth=1
                                        ; =>  This Inner Loop Header: Depth=2
	global_load_dwordx2 v[2:3], v0, s[4:5] sc0 sc1
	s_waitcnt vmcnt(0)
	v_cmp_ne_u64_e32 vcc, s[8:9], v[2:3]
	s_cbranch_vccnz .LBB0_670
; %bb.671:                              ;   in Loop: Header=BB0_1 Depth=1
	s_add_i32 s8, s0, 0x14f
	s_mov_b32 s9, s1
	v_mov_b64_e32 v[2:3], s[8:9]
	global_store_dwordx2 v0, v[2:3], s[6:7] sc0 sc1
.LBB0_672:                              ;   Parent Loop BB0_1 Depth=1
                                        ; =>  This Inner Loop Header: Depth=2
	global_load_dwordx2 v[2:3], v0, s[4:5] sc0 sc1
	s_waitcnt vmcnt(0)
	v_cmp_ne_u64_e32 vcc, s[8:9], v[2:3]
	s_cbranch_vccnz .LBB0_672
; %bb.673:                              ;   in Loop: Header=BB0_1 Depth=1
	s_add_i32 s8, s0, 0x150
	s_mov_b32 s9, s1
	v_mov_b64_e32 v[2:3], s[8:9]
	global_store_dwordx2 v0, v[2:3], s[6:7] sc0 sc1
.LBB0_674:                              ;   Parent Loop BB0_1 Depth=1
                                        ; =>  This Inner Loop Header: Depth=2
	global_load_dwordx2 v[2:3], v0, s[4:5] sc0 sc1
	s_waitcnt vmcnt(0)
	v_cmp_ne_u64_e32 vcc, s[8:9], v[2:3]
	s_cbranch_vccnz .LBB0_674
; %bb.675:                              ;   in Loop: Header=BB0_1 Depth=1
	s_add_i32 s8, s0, 0x151
	s_mov_b32 s9, s1
	v_mov_b64_e32 v[2:3], s[8:9]
	global_store_dwordx2 v0, v[2:3], s[6:7] sc0 sc1
.LBB0_676:                              ;   Parent Loop BB0_1 Depth=1
                                        ; =>  This Inner Loop Header: Depth=2
	global_load_dwordx2 v[2:3], v0, s[4:5] sc0 sc1
	s_waitcnt vmcnt(0)
	v_cmp_ne_u64_e32 vcc, s[8:9], v[2:3]
	s_cbranch_vccnz .LBB0_676
; %bb.677:                              ;   in Loop: Header=BB0_1 Depth=1
	s_add_i32 s8, s0, 0x152
	s_mov_b32 s9, s1
	v_mov_b64_e32 v[2:3], s[8:9]
	global_store_dwordx2 v0, v[2:3], s[6:7] sc0 sc1
.LBB0_678:                              ;   Parent Loop BB0_1 Depth=1
                                        ; =>  This Inner Loop Header: Depth=2
	global_load_dwordx2 v[2:3], v0, s[4:5] sc0 sc1
	s_waitcnt vmcnt(0)
	v_cmp_ne_u64_e32 vcc, s[8:9], v[2:3]
	s_cbranch_vccnz .LBB0_678
; %bb.679:                              ;   in Loop: Header=BB0_1 Depth=1
	s_add_i32 s8, s0, 0x153
	s_mov_b32 s9, s1
	v_mov_b64_e32 v[2:3], s[8:9]
	global_store_dwordx2 v0, v[2:3], s[6:7] sc0 sc1
.LBB0_680:                              ;   Parent Loop BB0_1 Depth=1
                                        ; =>  This Inner Loop Header: Depth=2
	global_load_dwordx2 v[2:3], v0, s[4:5] sc0 sc1
	s_waitcnt vmcnt(0)
	v_cmp_ne_u64_e32 vcc, s[8:9], v[2:3]
	s_cbranch_vccnz .LBB0_680
; %bb.681:                              ;   in Loop: Header=BB0_1 Depth=1
	s_add_i32 s8, s0, 0x154
	s_mov_b32 s9, s1
	v_mov_b64_e32 v[2:3], s[8:9]
	global_store_dwordx2 v0, v[2:3], s[6:7] sc0 sc1
.LBB0_682:                              ;   Parent Loop BB0_1 Depth=1
                                        ; =>  This Inner Loop Header: Depth=2
	global_load_dwordx2 v[2:3], v0, s[4:5] sc0 sc1
	s_waitcnt vmcnt(0)
	v_cmp_ne_u64_e32 vcc, s[8:9], v[2:3]
	s_cbranch_vccnz .LBB0_682
; %bb.683:                              ;   in Loop: Header=BB0_1 Depth=1
	s_add_i32 s8, s0, 0x155
	s_mov_b32 s9, s1
	v_mov_b64_e32 v[2:3], s[8:9]
	global_store_dwordx2 v0, v[2:3], s[6:7] sc0 sc1
.LBB0_684:                              ;   Parent Loop BB0_1 Depth=1
                                        ; =>  This Inner Loop Header: Depth=2
	global_load_dwordx2 v[2:3], v0, s[4:5] sc0 sc1
	s_waitcnt vmcnt(0)
	v_cmp_ne_u64_e32 vcc, s[8:9], v[2:3]
	s_cbranch_vccnz .LBB0_684
; %bb.685:                              ;   in Loop: Header=BB0_1 Depth=1
	s_add_i32 s8, s0, 0x156
	s_mov_b32 s9, s1
	v_mov_b64_e32 v[2:3], s[8:9]
	global_store_dwordx2 v0, v[2:3], s[6:7] sc0 sc1
.LBB0_686:                              ;   Parent Loop BB0_1 Depth=1
                                        ; =>  This Inner Loop Header: Depth=2
	global_load_dwordx2 v[2:3], v0, s[4:5] sc0 sc1
	s_waitcnt vmcnt(0)
	v_cmp_ne_u64_e32 vcc, s[8:9], v[2:3]
	s_cbranch_vccnz .LBB0_686
; %bb.687:                              ;   in Loop: Header=BB0_1 Depth=1
	s_add_i32 s8, s0, 0x157
	s_mov_b32 s9, s1
	v_mov_b64_e32 v[2:3], s[8:9]
	global_store_dwordx2 v0, v[2:3], s[6:7] sc0 sc1
.LBB0_688:                              ;   Parent Loop BB0_1 Depth=1
                                        ; =>  This Inner Loop Header: Depth=2
	global_load_dwordx2 v[2:3], v0, s[4:5] sc0 sc1
	s_waitcnt vmcnt(0)
	v_cmp_ne_u64_e32 vcc, s[8:9], v[2:3]
	s_cbranch_vccnz .LBB0_688
; %bb.689:                              ;   in Loop: Header=BB0_1 Depth=1
	s_add_i32 s8, s0, 0x158
	s_mov_b32 s9, s1
	v_mov_b64_e32 v[2:3], s[8:9]
	global_store_dwordx2 v0, v[2:3], s[6:7] sc0 sc1
.LBB0_690:                              ;   Parent Loop BB0_1 Depth=1
                                        ; =>  This Inner Loop Header: Depth=2
	global_load_dwordx2 v[2:3], v0, s[4:5] sc0 sc1
	s_waitcnt vmcnt(0)
	v_cmp_ne_u64_e32 vcc, s[8:9], v[2:3]
	s_cbranch_vccnz .LBB0_690
; %bb.691:                              ;   in Loop: Header=BB0_1 Depth=1
	s_add_i32 s8, s0, 0x159
	s_mov_b32 s9, s1
	v_mov_b64_e32 v[2:3], s[8:9]
	global_store_dwordx2 v0, v[2:3], s[6:7] sc0 sc1
.LBB0_692:                              ;   Parent Loop BB0_1 Depth=1
                                        ; =>  This Inner Loop Header: Depth=2
	global_load_dwordx2 v[2:3], v0, s[4:5] sc0 sc1
	s_waitcnt vmcnt(0)
	v_cmp_ne_u64_e32 vcc, s[8:9], v[2:3]
	s_cbranch_vccnz .LBB0_692
; %bb.693:                              ;   in Loop: Header=BB0_1 Depth=1
	s_add_i32 s8, s0, 0x15a
	s_mov_b32 s9, s1
	v_mov_b64_e32 v[2:3], s[8:9]
	global_store_dwordx2 v0, v[2:3], s[6:7] sc0 sc1
.LBB0_694:                              ;   Parent Loop BB0_1 Depth=1
                                        ; =>  This Inner Loop Header: Depth=2
	global_load_dwordx2 v[2:3], v0, s[4:5] sc0 sc1
	s_waitcnt vmcnt(0)
	v_cmp_ne_u64_e32 vcc, s[8:9], v[2:3]
	s_cbranch_vccnz .LBB0_694
; %bb.695:                              ;   in Loop: Header=BB0_1 Depth=1
	s_add_i32 s8, s0, 0x15b
	s_mov_b32 s9, s1
	v_mov_b64_e32 v[2:3], s[8:9]
	global_store_dwordx2 v0, v[2:3], s[6:7] sc0 sc1
.LBB0_696:                              ;   Parent Loop BB0_1 Depth=1
                                        ; =>  This Inner Loop Header: Depth=2
	global_load_dwordx2 v[2:3], v0, s[4:5] sc0 sc1
	s_waitcnt vmcnt(0)
	v_cmp_ne_u64_e32 vcc, s[8:9], v[2:3]
	s_cbranch_vccnz .LBB0_696
; %bb.697:                              ;   in Loop: Header=BB0_1 Depth=1
	s_add_i32 s8, s0, 0x15c
	s_mov_b32 s9, s1
	v_mov_b64_e32 v[2:3], s[8:9]
	global_store_dwordx2 v0, v[2:3], s[6:7] sc0 sc1
.LBB0_698:                              ;   Parent Loop BB0_1 Depth=1
                                        ; =>  This Inner Loop Header: Depth=2
	global_load_dwordx2 v[2:3], v0, s[4:5] sc0 sc1
	s_waitcnt vmcnt(0)
	v_cmp_ne_u64_e32 vcc, s[8:9], v[2:3]
	s_cbranch_vccnz .LBB0_698
; %bb.699:                              ;   in Loop: Header=BB0_1 Depth=1
	s_add_i32 s8, s0, 0x15d
	s_mov_b32 s9, s1
	v_mov_b64_e32 v[2:3], s[8:9]
	global_store_dwordx2 v0, v[2:3], s[6:7] sc0 sc1
.LBB0_700:                              ;   Parent Loop BB0_1 Depth=1
                                        ; =>  This Inner Loop Header: Depth=2
	global_load_dwordx2 v[2:3], v0, s[4:5] sc0 sc1
	s_waitcnt vmcnt(0)
	v_cmp_ne_u64_e32 vcc, s[8:9], v[2:3]
	s_cbranch_vccnz .LBB0_700
; %bb.701:                              ;   in Loop: Header=BB0_1 Depth=1
	s_add_i32 s8, s0, 0x15e
	s_mov_b32 s9, s1
	v_mov_b64_e32 v[2:3], s[8:9]
	global_store_dwordx2 v0, v[2:3], s[6:7] sc0 sc1
.LBB0_702:                              ;   Parent Loop BB0_1 Depth=1
                                        ; =>  This Inner Loop Header: Depth=2
	global_load_dwordx2 v[2:3], v0, s[4:5] sc0 sc1
	s_waitcnt vmcnt(0)
	v_cmp_ne_u64_e32 vcc, s[8:9], v[2:3]
	s_cbranch_vccnz .LBB0_702
; %bb.703:                              ;   in Loop: Header=BB0_1 Depth=1
	s_add_i32 s8, s0, 0x15f
	s_mov_b32 s9, s1
	v_mov_b64_e32 v[2:3], s[8:9]
	global_store_dwordx2 v0, v[2:3], s[6:7] sc0 sc1
.LBB0_704:                              ;   Parent Loop BB0_1 Depth=1
                                        ; =>  This Inner Loop Header: Depth=2
	global_load_dwordx2 v[2:3], v0, s[4:5] sc0 sc1
	s_waitcnt vmcnt(0)
	v_cmp_ne_u64_e32 vcc, s[8:9], v[2:3]
	s_cbranch_vccnz .LBB0_704
; %bb.705:                              ;   in Loop: Header=BB0_1 Depth=1
	s_add_i32 s8, s0, 0x160
	s_mov_b32 s9, s1
	v_mov_b64_e32 v[2:3], s[8:9]
	global_store_dwordx2 v0, v[2:3], s[6:7] sc0 sc1
.LBB0_706:                              ;   Parent Loop BB0_1 Depth=1
                                        ; =>  This Inner Loop Header: Depth=2
	global_load_dwordx2 v[2:3], v0, s[4:5] sc0 sc1
	s_waitcnt vmcnt(0)
	v_cmp_ne_u64_e32 vcc, s[8:9], v[2:3]
	s_cbranch_vccnz .LBB0_706
; %bb.707:                              ;   in Loop: Header=BB0_1 Depth=1
	s_add_i32 s8, s0, 0x161
	s_mov_b32 s9, s1
	v_mov_b64_e32 v[2:3], s[8:9]
	global_store_dwordx2 v0, v[2:3], s[6:7] sc0 sc1
.LBB0_708:                              ;   Parent Loop BB0_1 Depth=1
                                        ; =>  This Inner Loop Header: Depth=2
	global_load_dwordx2 v[2:3], v0, s[4:5] sc0 sc1
	s_waitcnt vmcnt(0)
	v_cmp_ne_u64_e32 vcc, s[8:9], v[2:3]
	s_cbranch_vccnz .LBB0_708
; %bb.709:                              ;   in Loop: Header=BB0_1 Depth=1
	s_add_i32 s8, s0, 0x162
	s_mov_b32 s9, s1
	v_mov_b64_e32 v[2:3], s[8:9]
	global_store_dwordx2 v0, v[2:3], s[6:7] sc0 sc1
.LBB0_710:                              ;   Parent Loop BB0_1 Depth=1
                                        ; =>  This Inner Loop Header: Depth=2
	global_load_dwordx2 v[2:3], v0, s[4:5] sc0 sc1
	s_waitcnt vmcnt(0)
	v_cmp_ne_u64_e32 vcc, s[8:9], v[2:3]
	s_cbranch_vccnz .LBB0_710
; %bb.711:                              ;   in Loop: Header=BB0_1 Depth=1
	s_add_i32 s8, s0, 0x163
	s_mov_b32 s9, s1
	v_mov_b64_e32 v[2:3], s[8:9]
	global_store_dwordx2 v0, v[2:3], s[6:7] sc0 sc1
.LBB0_712:                              ;   Parent Loop BB0_1 Depth=1
                                        ; =>  This Inner Loop Header: Depth=2
	global_load_dwordx2 v[2:3], v0, s[4:5] sc0 sc1
	s_waitcnt vmcnt(0)
	v_cmp_ne_u64_e32 vcc, s[8:9], v[2:3]
	s_cbranch_vccnz .LBB0_712
; %bb.713:                              ;   in Loop: Header=BB0_1 Depth=1
	s_add_i32 s8, s0, 0x164
	s_mov_b32 s9, s1
	v_mov_b64_e32 v[2:3], s[8:9]
	global_store_dwordx2 v0, v[2:3], s[6:7] sc0 sc1
.LBB0_714:                              ;   Parent Loop BB0_1 Depth=1
                                        ; =>  This Inner Loop Header: Depth=2
	global_load_dwordx2 v[2:3], v0, s[4:5] sc0 sc1
	s_waitcnt vmcnt(0)
	v_cmp_ne_u64_e32 vcc, s[8:9], v[2:3]
	s_cbranch_vccnz .LBB0_714
; %bb.715:                              ;   in Loop: Header=BB0_1 Depth=1
	s_add_i32 s8, s0, 0x165
	s_mov_b32 s9, s1
	v_mov_b64_e32 v[2:3], s[8:9]
	global_store_dwordx2 v0, v[2:3], s[6:7] sc0 sc1
.LBB0_716:                              ;   Parent Loop BB0_1 Depth=1
                                        ; =>  This Inner Loop Header: Depth=2
	global_load_dwordx2 v[2:3], v0, s[4:5] sc0 sc1
	s_waitcnt vmcnt(0)
	v_cmp_ne_u64_e32 vcc, s[8:9], v[2:3]
	s_cbranch_vccnz .LBB0_716
; %bb.717:                              ;   in Loop: Header=BB0_1 Depth=1
	s_add_i32 s8, s0, 0x166
	s_mov_b32 s9, s1
	v_mov_b64_e32 v[2:3], s[8:9]
	global_store_dwordx2 v0, v[2:3], s[6:7] sc0 sc1
.LBB0_718:                              ;   Parent Loop BB0_1 Depth=1
                                        ; =>  This Inner Loop Header: Depth=2
	global_load_dwordx2 v[2:3], v0, s[4:5] sc0 sc1
	s_waitcnt vmcnt(0)
	v_cmp_ne_u64_e32 vcc, s[8:9], v[2:3]
	s_cbranch_vccnz .LBB0_718
; %bb.719:                              ;   in Loop: Header=BB0_1 Depth=1
	s_add_i32 s8, s0, 0x167
	s_mov_b32 s9, s1
	v_mov_b64_e32 v[2:3], s[8:9]
	global_store_dwordx2 v0, v[2:3], s[6:7] sc0 sc1
.LBB0_720:                              ;   Parent Loop BB0_1 Depth=1
                                        ; =>  This Inner Loop Header: Depth=2
	global_load_dwordx2 v[2:3], v0, s[4:5] sc0 sc1
	s_waitcnt vmcnt(0)
	v_cmp_ne_u64_e32 vcc, s[8:9], v[2:3]
	s_cbranch_vccnz .LBB0_720
; %bb.721:                              ;   in Loop: Header=BB0_1 Depth=1
	s_add_i32 s8, s0, 0x168
	s_mov_b32 s9, s1
	v_mov_b64_e32 v[2:3], s[8:9]
	global_store_dwordx2 v0, v[2:3], s[6:7] sc0 sc1
.LBB0_722:                              ;   Parent Loop BB0_1 Depth=1
                                        ; =>  This Inner Loop Header: Depth=2
	global_load_dwordx2 v[2:3], v0, s[4:5] sc0 sc1
	s_waitcnt vmcnt(0)
	v_cmp_ne_u64_e32 vcc, s[8:9], v[2:3]
	s_cbranch_vccnz .LBB0_722
; %bb.723:                              ;   in Loop: Header=BB0_1 Depth=1
	s_add_i32 s8, s0, 0x169
	s_mov_b32 s9, s1
	v_mov_b64_e32 v[2:3], s[8:9]
	global_store_dwordx2 v0, v[2:3], s[6:7] sc0 sc1
.LBB0_724:                              ;   Parent Loop BB0_1 Depth=1
                                        ; =>  This Inner Loop Header: Depth=2
	global_load_dwordx2 v[2:3], v0, s[4:5] sc0 sc1
	s_waitcnt vmcnt(0)
	v_cmp_ne_u64_e32 vcc, s[8:9], v[2:3]
	s_cbranch_vccnz .LBB0_724
; %bb.725:                              ;   in Loop: Header=BB0_1 Depth=1
	s_add_i32 s8, s0, 0x16a
	s_mov_b32 s9, s1
	v_mov_b64_e32 v[2:3], s[8:9]
	global_store_dwordx2 v0, v[2:3], s[6:7] sc0 sc1
.LBB0_726:                              ;   Parent Loop BB0_1 Depth=1
                                        ; =>  This Inner Loop Header: Depth=2
	global_load_dwordx2 v[2:3], v0, s[4:5] sc0 sc1
	s_waitcnt vmcnt(0)
	v_cmp_ne_u64_e32 vcc, s[8:9], v[2:3]
	s_cbranch_vccnz .LBB0_726
; %bb.727:                              ;   in Loop: Header=BB0_1 Depth=1
	s_add_i32 s8, s0, 0x16b
	s_mov_b32 s9, s1
	v_mov_b64_e32 v[2:3], s[8:9]
	global_store_dwordx2 v0, v[2:3], s[6:7] sc0 sc1
.LBB0_728:                              ;   Parent Loop BB0_1 Depth=1
                                        ; =>  This Inner Loop Header: Depth=2
	global_load_dwordx2 v[2:3], v0, s[4:5] sc0 sc1
	s_waitcnt vmcnt(0)
	v_cmp_ne_u64_e32 vcc, s[8:9], v[2:3]
	s_cbranch_vccnz .LBB0_728
; %bb.729:                              ;   in Loop: Header=BB0_1 Depth=1
	s_add_i32 s8, s0, 0x16c
	s_mov_b32 s9, s1
	v_mov_b64_e32 v[2:3], s[8:9]
	global_store_dwordx2 v0, v[2:3], s[6:7] sc0 sc1
.LBB0_730:                              ;   Parent Loop BB0_1 Depth=1
                                        ; =>  This Inner Loop Header: Depth=2
	global_load_dwordx2 v[2:3], v0, s[4:5] sc0 sc1
	s_waitcnt vmcnt(0)
	v_cmp_ne_u64_e32 vcc, s[8:9], v[2:3]
	s_cbranch_vccnz .LBB0_730
; %bb.731:                              ;   in Loop: Header=BB0_1 Depth=1
	s_add_i32 s8, s0, 0x16d
	s_mov_b32 s9, s1
	v_mov_b64_e32 v[2:3], s[8:9]
	global_store_dwordx2 v0, v[2:3], s[6:7] sc0 sc1
.LBB0_732:                              ;   Parent Loop BB0_1 Depth=1
                                        ; =>  This Inner Loop Header: Depth=2
	global_load_dwordx2 v[2:3], v0, s[4:5] sc0 sc1
	s_waitcnt vmcnt(0)
	v_cmp_ne_u64_e32 vcc, s[8:9], v[2:3]
	s_cbranch_vccnz .LBB0_732
; %bb.733:                              ;   in Loop: Header=BB0_1 Depth=1
	s_add_i32 s8, s0, 0x16e
	s_mov_b32 s9, s1
	v_mov_b64_e32 v[2:3], s[8:9]
	global_store_dwordx2 v0, v[2:3], s[6:7] sc0 sc1
.LBB0_734:                              ;   Parent Loop BB0_1 Depth=1
                                        ; =>  This Inner Loop Header: Depth=2
	global_load_dwordx2 v[2:3], v0, s[4:5] sc0 sc1
	s_waitcnt vmcnt(0)
	v_cmp_ne_u64_e32 vcc, s[8:9], v[2:3]
	s_cbranch_vccnz .LBB0_734
; %bb.735:                              ;   in Loop: Header=BB0_1 Depth=1
	s_add_i32 s8, s0, 0x16f
	s_mov_b32 s9, s1
	v_mov_b64_e32 v[2:3], s[8:9]
	global_store_dwordx2 v0, v[2:3], s[6:7] sc0 sc1
.LBB0_736:                              ;   Parent Loop BB0_1 Depth=1
                                        ; =>  This Inner Loop Header: Depth=2
	global_load_dwordx2 v[2:3], v0, s[4:5] sc0 sc1
	s_waitcnt vmcnt(0)
	v_cmp_ne_u64_e32 vcc, s[8:9], v[2:3]
	s_cbranch_vccnz .LBB0_736
; %bb.737:                              ;   in Loop: Header=BB0_1 Depth=1
	s_add_i32 s8, s0, 0x170
	s_mov_b32 s9, s1
	v_mov_b64_e32 v[2:3], s[8:9]
	global_store_dwordx2 v0, v[2:3], s[6:7] sc0 sc1
.LBB0_738:                              ;   Parent Loop BB0_1 Depth=1
                                        ; =>  This Inner Loop Header: Depth=2
	global_load_dwordx2 v[2:3], v0, s[4:5] sc0 sc1
	s_waitcnt vmcnt(0)
	v_cmp_ne_u64_e32 vcc, s[8:9], v[2:3]
	s_cbranch_vccnz .LBB0_738
; %bb.739:                              ;   in Loop: Header=BB0_1 Depth=1
	s_add_i32 s8, s0, 0x171
	s_mov_b32 s9, s1
	v_mov_b64_e32 v[2:3], s[8:9]
	global_store_dwordx2 v0, v[2:3], s[6:7] sc0 sc1
.LBB0_740:                              ;   Parent Loop BB0_1 Depth=1
                                        ; =>  This Inner Loop Header: Depth=2
	global_load_dwordx2 v[2:3], v0, s[4:5] sc0 sc1
	s_waitcnt vmcnt(0)
	v_cmp_ne_u64_e32 vcc, s[8:9], v[2:3]
	s_cbranch_vccnz .LBB0_740
; %bb.741:                              ;   in Loop: Header=BB0_1 Depth=1
	s_add_i32 s8, s0, 0x172
	s_mov_b32 s9, s1
	v_mov_b64_e32 v[2:3], s[8:9]
	global_store_dwordx2 v0, v[2:3], s[6:7] sc0 sc1
.LBB0_742:                              ;   Parent Loop BB0_1 Depth=1
                                        ; =>  This Inner Loop Header: Depth=2
	global_load_dwordx2 v[2:3], v0, s[4:5] sc0 sc1
	s_waitcnt vmcnt(0)
	v_cmp_ne_u64_e32 vcc, s[8:9], v[2:3]
	s_cbranch_vccnz .LBB0_742
; %bb.743:                              ;   in Loop: Header=BB0_1 Depth=1
	s_add_i32 s8, s0, 0x173
	s_mov_b32 s9, s1
	v_mov_b64_e32 v[2:3], s[8:9]
	global_store_dwordx2 v0, v[2:3], s[6:7] sc0 sc1
.LBB0_744:                              ;   Parent Loop BB0_1 Depth=1
                                        ; =>  This Inner Loop Header: Depth=2
	global_load_dwordx2 v[2:3], v0, s[4:5] sc0 sc1
	s_waitcnt vmcnt(0)
	v_cmp_ne_u64_e32 vcc, s[8:9], v[2:3]
	s_cbranch_vccnz .LBB0_744
; %bb.745:                              ;   in Loop: Header=BB0_1 Depth=1
	s_add_i32 s8, s0, 0x174
	s_mov_b32 s9, s1
	v_mov_b64_e32 v[2:3], s[8:9]
	global_store_dwordx2 v0, v[2:3], s[6:7] sc0 sc1
.LBB0_746:                              ;   Parent Loop BB0_1 Depth=1
                                        ; =>  This Inner Loop Header: Depth=2
	global_load_dwordx2 v[2:3], v0, s[4:5] sc0 sc1
	s_waitcnt vmcnt(0)
	v_cmp_ne_u64_e32 vcc, s[8:9], v[2:3]
	s_cbranch_vccnz .LBB0_746
; %bb.747:                              ;   in Loop: Header=BB0_1 Depth=1
	s_add_i32 s8, s0, 0x175
	s_mov_b32 s9, s1
	v_mov_b64_e32 v[2:3], s[8:9]
	global_store_dwordx2 v0, v[2:3], s[6:7] sc0 sc1
.LBB0_748:                              ;   Parent Loop BB0_1 Depth=1
                                        ; =>  This Inner Loop Header: Depth=2
	global_load_dwordx2 v[2:3], v0, s[4:5] sc0 sc1
	s_waitcnt vmcnt(0)
	v_cmp_ne_u64_e32 vcc, s[8:9], v[2:3]
	s_cbranch_vccnz .LBB0_748
; %bb.749:                              ;   in Loop: Header=BB0_1 Depth=1
	s_add_i32 s8, s0, 0x176
	s_mov_b32 s9, s1
	v_mov_b64_e32 v[2:3], s[8:9]
	global_store_dwordx2 v0, v[2:3], s[6:7] sc0 sc1
.LBB0_750:                              ;   Parent Loop BB0_1 Depth=1
                                        ; =>  This Inner Loop Header: Depth=2
	global_load_dwordx2 v[2:3], v0, s[4:5] sc0 sc1
	s_waitcnt vmcnt(0)
	v_cmp_ne_u64_e32 vcc, s[8:9], v[2:3]
	s_cbranch_vccnz .LBB0_750
; %bb.751:                              ;   in Loop: Header=BB0_1 Depth=1
	s_add_i32 s8, s0, 0x177
	s_mov_b32 s9, s1
	v_mov_b64_e32 v[2:3], s[8:9]
	global_store_dwordx2 v0, v[2:3], s[6:7] sc0 sc1
.LBB0_752:                              ;   Parent Loop BB0_1 Depth=1
                                        ; =>  This Inner Loop Header: Depth=2
	global_load_dwordx2 v[2:3], v0, s[4:5] sc0 sc1
	s_waitcnt vmcnt(0)
	v_cmp_ne_u64_e32 vcc, s[8:9], v[2:3]
	s_cbranch_vccnz .LBB0_752
; %bb.753:                              ;   in Loop: Header=BB0_1 Depth=1
	s_add_i32 s8, s0, 0x178
	s_mov_b32 s9, s1
	v_mov_b64_e32 v[2:3], s[8:9]
	global_store_dwordx2 v0, v[2:3], s[6:7] sc0 sc1
.LBB0_754:                              ;   Parent Loop BB0_1 Depth=1
                                        ; =>  This Inner Loop Header: Depth=2
	global_load_dwordx2 v[2:3], v0, s[4:5] sc0 sc1
	s_waitcnt vmcnt(0)
	v_cmp_ne_u64_e32 vcc, s[8:9], v[2:3]
	s_cbranch_vccnz .LBB0_754
; %bb.755:                              ;   in Loop: Header=BB0_1 Depth=1
	s_add_i32 s8, s0, 0x179
	s_mov_b32 s9, s1
	v_mov_b64_e32 v[2:3], s[8:9]
	global_store_dwordx2 v0, v[2:3], s[6:7] sc0 sc1
.LBB0_756:                              ;   Parent Loop BB0_1 Depth=1
                                        ; =>  This Inner Loop Header: Depth=2
	global_load_dwordx2 v[2:3], v0, s[4:5] sc0 sc1
	s_waitcnt vmcnt(0)
	v_cmp_ne_u64_e32 vcc, s[8:9], v[2:3]
	s_cbranch_vccnz .LBB0_756
; %bb.757:                              ;   in Loop: Header=BB0_1 Depth=1
	s_add_i32 s8, s0, 0x17a
	s_mov_b32 s9, s1
	v_mov_b64_e32 v[2:3], s[8:9]
	global_store_dwordx2 v0, v[2:3], s[6:7] sc0 sc1
.LBB0_758:                              ;   Parent Loop BB0_1 Depth=1
                                        ; =>  This Inner Loop Header: Depth=2
	global_load_dwordx2 v[2:3], v0, s[4:5] sc0 sc1
	s_waitcnt vmcnt(0)
	v_cmp_ne_u64_e32 vcc, s[8:9], v[2:3]
	s_cbranch_vccnz .LBB0_758
; %bb.759:                              ;   in Loop: Header=BB0_1 Depth=1
	s_add_i32 s8, s0, 0x17b
	s_mov_b32 s9, s1
	v_mov_b64_e32 v[2:3], s[8:9]
	global_store_dwordx2 v0, v[2:3], s[6:7] sc0 sc1
.LBB0_760:                              ;   Parent Loop BB0_1 Depth=1
                                        ; =>  This Inner Loop Header: Depth=2
	global_load_dwordx2 v[2:3], v0, s[4:5] sc0 sc1
	s_waitcnt vmcnt(0)
	v_cmp_ne_u64_e32 vcc, s[8:9], v[2:3]
	s_cbranch_vccnz .LBB0_760
; %bb.761:                              ;   in Loop: Header=BB0_1 Depth=1
	s_add_i32 s8, s0, 0x17c
	s_mov_b32 s9, s1
	v_mov_b64_e32 v[2:3], s[8:9]
	global_store_dwordx2 v0, v[2:3], s[6:7] sc0 sc1
.LBB0_762:                              ;   Parent Loop BB0_1 Depth=1
                                        ; =>  This Inner Loop Header: Depth=2
	global_load_dwordx2 v[2:3], v0, s[4:5] sc0 sc1
	s_waitcnt vmcnt(0)
	v_cmp_ne_u64_e32 vcc, s[8:9], v[2:3]
	s_cbranch_vccnz .LBB0_762
; %bb.763:                              ;   in Loop: Header=BB0_1 Depth=1
	s_add_i32 s8, s0, 0x17d
	s_mov_b32 s9, s1
	v_mov_b64_e32 v[2:3], s[8:9]
	global_store_dwordx2 v0, v[2:3], s[6:7] sc0 sc1
.LBB0_764:                              ;   Parent Loop BB0_1 Depth=1
                                        ; =>  This Inner Loop Header: Depth=2
	global_load_dwordx2 v[2:3], v0, s[4:5] sc0 sc1
	s_waitcnt vmcnt(0)
	v_cmp_ne_u64_e32 vcc, s[8:9], v[2:3]
	s_cbranch_vccnz .LBB0_764
; %bb.765:                              ;   in Loop: Header=BB0_1 Depth=1
	s_add_i32 s8, s0, 0x17e
	s_mov_b32 s9, s1
	v_mov_b64_e32 v[2:3], s[8:9]
	global_store_dwordx2 v0, v[2:3], s[6:7] sc0 sc1
.LBB0_766:                              ;   Parent Loop BB0_1 Depth=1
                                        ; =>  This Inner Loop Header: Depth=2
	global_load_dwordx2 v[2:3], v0, s[4:5] sc0 sc1
	s_waitcnt vmcnt(0)
	v_cmp_ne_u64_e32 vcc, s[8:9], v[2:3]
	s_cbranch_vccnz .LBB0_766
; %bb.767:                              ;   in Loop: Header=BB0_1 Depth=1
	s_add_i32 s8, s0, 0x17f
	s_mov_b32 s9, s1
	v_mov_b64_e32 v[2:3], s[8:9]
	global_store_dwordx2 v0, v[2:3], s[6:7] sc0 sc1
.LBB0_768:                              ;   Parent Loop BB0_1 Depth=1
                                        ; =>  This Inner Loop Header: Depth=2
	global_load_dwordx2 v[2:3], v0, s[4:5] sc0 sc1
	s_waitcnt vmcnt(0)
	v_cmp_ne_u64_e32 vcc, s[8:9], v[2:3]
	s_cbranch_vccnz .LBB0_768
; %bb.769:                              ;   in Loop: Header=BB0_1 Depth=1
	s_add_i32 s8, s0, 0x180
	s_mov_b32 s9, s1
	v_mov_b64_e32 v[2:3], s[8:9]
	global_store_dwordx2 v0, v[2:3], s[6:7] sc0 sc1
.LBB0_770:                              ;   Parent Loop BB0_1 Depth=1
                                        ; =>  This Inner Loop Header: Depth=2
	global_load_dwordx2 v[2:3], v0, s[4:5] sc0 sc1
	s_waitcnt vmcnt(0)
	v_cmp_ne_u64_e32 vcc, s[8:9], v[2:3]
	s_cbranch_vccnz .LBB0_770
; %bb.771:                              ;   in Loop: Header=BB0_1 Depth=1
	s_add_i32 s8, s0, 0x181
	s_mov_b32 s9, s1
	v_mov_b64_e32 v[2:3], s[8:9]
	global_store_dwordx2 v0, v[2:3], s[6:7] sc0 sc1
.LBB0_772:                              ;   Parent Loop BB0_1 Depth=1
                                        ; =>  This Inner Loop Header: Depth=2
	global_load_dwordx2 v[2:3], v0, s[4:5] sc0 sc1
	s_waitcnt vmcnt(0)
	v_cmp_ne_u64_e32 vcc, s[8:9], v[2:3]
	s_cbranch_vccnz .LBB0_772
; %bb.773:                              ;   in Loop: Header=BB0_1 Depth=1
	s_add_i32 s8, s0, 0x182
	s_mov_b32 s9, s1
	v_mov_b64_e32 v[2:3], s[8:9]
	global_store_dwordx2 v0, v[2:3], s[6:7] sc0 sc1
.LBB0_774:                              ;   Parent Loop BB0_1 Depth=1
                                        ; =>  This Inner Loop Header: Depth=2
	global_load_dwordx2 v[2:3], v0, s[4:5] sc0 sc1
	s_waitcnt vmcnt(0)
	v_cmp_ne_u64_e32 vcc, s[8:9], v[2:3]
	s_cbranch_vccnz .LBB0_774
; %bb.775:                              ;   in Loop: Header=BB0_1 Depth=1
	s_add_i32 s8, s0, 0x183
	s_mov_b32 s9, s1
	v_mov_b64_e32 v[2:3], s[8:9]
	global_store_dwordx2 v0, v[2:3], s[6:7] sc0 sc1
.LBB0_776:                              ;   Parent Loop BB0_1 Depth=1
                                        ; =>  This Inner Loop Header: Depth=2
	global_load_dwordx2 v[2:3], v0, s[4:5] sc0 sc1
	s_waitcnt vmcnt(0)
	v_cmp_ne_u64_e32 vcc, s[8:9], v[2:3]
	s_cbranch_vccnz .LBB0_776
; %bb.777:                              ;   in Loop: Header=BB0_1 Depth=1
	s_add_i32 s8, s0, 0x184
	s_mov_b32 s9, s1
	v_mov_b64_e32 v[2:3], s[8:9]
	global_store_dwordx2 v0, v[2:3], s[6:7] sc0 sc1
.LBB0_778:                              ;   Parent Loop BB0_1 Depth=1
                                        ; =>  This Inner Loop Header: Depth=2
	global_load_dwordx2 v[2:3], v0, s[4:5] sc0 sc1
	s_waitcnt vmcnt(0)
	v_cmp_ne_u64_e32 vcc, s[8:9], v[2:3]
	s_cbranch_vccnz .LBB0_778
; %bb.779:                              ;   in Loop: Header=BB0_1 Depth=1
	s_add_i32 s8, s0, 0x185
	s_mov_b32 s9, s1
	v_mov_b64_e32 v[2:3], s[8:9]
	global_store_dwordx2 v0, v[2:3], s[6:7] sc0 sc1
.LBB0_780:                              ;   Parent Loop BB0_1 Depth=1
                                        ; =>  This Inner Loop Header: Depth=2
	global_load_dwordx2 v[2:3], v0, s[4:5] sc0 sc1
	s_waitcnt vmcnt(0)
	v_cmp_ne_u64_e32 vcc, s[8:9], v[2:3]
	s_cbranch_vccnz .LBB0_780
; %bb.781:                              ;   in Loop: Header=BB0_1 Depth=1
	s_add_i32 s8, s0, 0x186
	s_mov_b32 s9, s1
	v_mov_b64_e32 v[2:3], s[8:9]
	global_store_dwordx2 v0, v[2:3], s[6:7] sc0 sc1
.LBB0_782:                              ;   Parent Loop BB0_1 Depth=1
                                        ; =>  This Inner Loop Header: Depth=2
	global_load_dwordx2 v[2:3], v0, s[4:5] sc0 sc1
	s_waitcnt vmcnt(0)
	v_cmp_ne_u64_e32 vcc, s[8:9], v[2:3]
	s_cbranch_vccnz .LBB0_782
; %bb.783:                              ;   in Loop: Header=BB0_1 Depth=1
	s_add_i32 s8, s0, 0x187
	s_mov_b32 s9, s1
	v_mov_b64_e32 v[2:3], s[8:9]
	global_store_dwordx2 v0, v[2:3], s[6:7] sc0 sc1
.LBB0_784:                              ;   Parent Loop BB0_1 Depth=1
                                        ; =>  This Inner Loop Header: Depth=2
	global_load_dwordx2 v[2:3], v0, s[4:5] sc0 sc1
	s_waitcnt vmcnt(0)
	v_cmp_ne_u64_e32 vcc, s[8:9], v[2:3]
	s_cbranch_vccnz .LBB0_784
; %bb.785:                              ;   in Loop: Header=BB0_1 Depth=1
	s_add_i32 s8, s0, 0x188
	s_mov_b32 s9, s1
	v_mov_b64_e32 v[2:3], s[8:9]
	global_store_dwordx2 v0, v[2:3], s[6:7] sc0 sc1
.LBB0_786:                              ;   Parent Loop BB0_1 Depth=1
                                        ; =>  This Inner Loop Header: Depth=2
	global_load_dwordx2 v[2:3], v0, s[4:5] sc0 sc1
	s_waitcnt vmcnt(0)
	v_cmp_ne_u64_e32 vcc, s[8:9], v[2:3]
	s_cbranch_vccnz .LBB0_786
; %bb.787:                              ;   in Loop: Header=BB0_1 Depth=1
	s_add_i32 s8, s0, 0x189
	s_mov_b32 s9, s1
	v_mov_b64_e32 v[2:3], s[8:9]
	global_store_dwordx2 v0, v[2:3], s[6:7] sc0 sc1
.LBB0_788:                              ;   Parent Loop BB0_1 Depth=1
                                        ; =>  This Inner Loop Header: Depth=2
	global_load_dwordx2 v[2:3], v0, s[4:5] sc0 sc1
	s_waitcnt vmcnt(0)
	v_cmp_ne_u64_e32 vcc, s[8:9], v[2:3]
	s_cbranch_vccnz .LBB0_788
; %bb.789:                              ;   in Loop: Header=BB0_1 Depth=1
	s_add_i32 s8, s0, 0x18a
	s_mov_b32 s9, s1
	v_mov_b64_e32 v[2:3], s[8:9]
	global_store_dwordx2 v0, v[2:3], s[6:7] sc0 sc1
.LBB0_790:                              ;   Parent Loop BB0_1 Depth=1
                                        ; =>  This Inner Loop Header: Depth=2
	global_load_dwordx2 v[2:3], v0, s[4:5] sc0 sc1
	s_waitcnt vmcnt(0)
	v_cmp_ne_u64_e32 vcc, s[8:9], v[2:3]
	s_cbranch_vccnz .LBB0_790
; %bb.791:                              ;   in Loop: Header=BB0_1 Depth=1
	s_add_i32 s8, s0, 0x18b
	s_mov_b32 s9, s1
	v_mov_b64_e32 v[2:3], s[8:9]
	global_store_dwordx2 v0, v[2:3], s[6:7] sc0 sc1
.LBB0_792:                              ;   Parent Loop BB0_1 Depth=1
                                        ; =>  This Inner Loop Header: Depth=2
	global_load_dwordx2 v[2:3], v0, s[4:5] sc0 sc1
	s_waitcnt vmcnt(0)
	v_cmp_ne_u64_e32 vcc, s[8:9], v[2:3]
	s_cbranch_vccnz .LBB0_792
; %bb.793:                              ;   in Loop: Header=BB0_1 Depth=1
	s_add_i32 s8, s0, 0x18c
	s_mov_b32 s9, s1
	v_mov_b64_e32 v[2:3], s[8:9]
	global_store_dwordx2 v0, v[2:3], s[6:7] sc0 sc1
.LBB0_794:                              ;   Parent Loop BB0_1 Depth=1
                                        ; =>  This Inner Loop Header: Depth=2
	global_load_dwordx2 v[2:3], v0, s[4:5] sc0 sc1
	s_waitcnt vmcnt(0)
	v_cmp_ne_u64_e32 vcc, s[8:9], v[2:3]
	s_cbranch_vccnz .LBB0_794
; %bb.795:                              ;   in Loop: Header=BB0_1 Depth=1
	s_add_i32 s8, s0, 0x18d
	s_mov_b32 s9, s1
	v_mov_b64_e32 v[2:3], s[8:9]
	global_store_dwordx2 v0, v[2:3], s[6:7] sc0 sc1
.LBB0_796:                              ;   Parent Loop BB0_1 Depth=1
                                        ; =>  This Inner Loop Header: Depth=2
	global_load_dwordx2 v[2:3], v0, s[4:5] sc0 sc1
	s_waitcnt vmcnt(0)
	v_cmp_ne_u64_e32 vcc, s[8:9], v[2:3]
	s_cbranch_vccnz .LBB0_796
; %bb.797:                              ;   in Loop: Header=BB0_1 Depth=1
	s_add_i32 s8, s0, 0x18e
	s_mov_b32 s9, s1
	v_mov_b64_e32 v[2:3], s[8:9]
	global_store_dwordx2 v0, v[2:3], s[6:7] sc0 sc1
.LBB0_798:                              ;   Parent Loop BB0_1 Depth=1
                                        ; =>  This Inner Loop Header: Depth=2
	global_load_dwordx2 v[2:3], v0, s[4:5] sc0 sc1
	s_waitcnt vmcnt(0)
	v_cmp_ne_u64_e32 vcc, s[8:9], v[2:3]
	s_cbranch_vccnz .LBB0_798
; %bb.799:                              ;   in Loop: Header=BB0_1 Depth=1
	s_add_i32 s8, s0, 0x18f
	s_mov_b32 s9, s1
	v_mov_b64_e32 v[2:3], s[8:9]
	global_store_dwordx2 v0, v[2:3], s[6:7] sc0 sc1
.LBB0_800:                              ;   Parent Loop BB0_1 Depth=1
                                        ; =>  This Inner Loop Header: Depth=2
	global_load_dwordx2 v[2:3], v0, s[4:5] sc0 sc1
	s_waitcnt vmcnt(0)
	v_cmp_ne_u64_e32 vcc, s[8:9], v[2:3]
	s_cbranch_vccnz .LBB0_800
; %bb.801:                              ;   in Loop: Header=BB0_1 Depth=1
	s_add_i32 s8, s0, 0x190
	s_mov_b32 s9, s1
	v_mov_b64_e32 v[2:3], s[8:9]
	global_store_dwordx2 v0, v[2:3], s[6:7] sc0 sc1
.LBB0_802:                              ;   Parent Loop BB0_1 Depth=1
                                        ; =>  This Inner Loop Header: Depth=2
	global_load_dwordx2 v[2:3], v0, s[4:5] sc0 sc1
	s_waitcnt vmcnt(0)
	v_cmp_ne_u64_e32 vcc, s[8:9], v[2:3]
	s_cbranch_vccnz .LBB0_802
; %bb.803:                              ;   in Loop: Header=BB0_1 Depth=1
	s_add_i32 s8, s0, 0x191
	s_mov_b32 s9, s1
	v_mov_b64_e32 v[2:3], s[8:9]
	global_store_dwordx2 v0, v[2:3], s[6:7] sc0 sc1
.LBB0_804:                              ;   Parent Loop BB0_1 Depth=1
                                        ; =>  This Inner Loop Header: Depth=2
	global_load_dwordx2 v[2:3], v0, s[4:5] sc0 sc1
	s_waitcnt vmcnt(0)
	v_cmp_ne_u64_e32 vcc, s[8:9], v[2:3]
	s_cbranch_vccnz .LBB0_804
; %bb.805:                              ;   in Loop: Header=BB0_1 Depth=1
	s_add_i32 s8, s0, 0x192
	s_mov_b32 s9, s1
	v_mov_b64_e32 v[2:3], s[8:9]
	global_store_dwordx2 v0, v[2:3], s[6:7] sc0 sc1
.LBB0_806:                              ;   Parent Loop BB0_1 Depth=1
                                        ; =>  This Inner Loop Header: Depth=2
	global_load_dwordx2 v[2:3], v0, s[4:5] sc0 sc1
	s_waitcnt vmcnt(0)
	v_cmp_ne_u64_e32 vcc, s[8:9], v[2:3]
	s_cbranch_vccnz .LBB0_806
; %bb.807:                              ;   in Loop: Header=BB0_1 Depth=1
	s_add_i32 s8, s0, 0x193
	s_mov_b32 s9, s1
	v_mov_b64_e32 v[2:3], s[8:9]
	global_store_dwordx2 v0, v[2:3], s[6:7] sc0 sc1
.LBB0_808:                              ;   Parent Loop BB0_1 Depth=1
                                        ; =>  This Inner Loop Header: Depth=2
	global_load_dwordx2 v[2:3], v0, s[4:5] sc0 sc1
	s_waitcnt vmcnt(0)
	v_cmp_ne_u64_e32 vcc, s[8:9], v[2:3]
	s_cbranch_vccnz .LBB0_808
; %bb.809:                              ;   in Loop: Header=BB0_1 Depth=1
	s_add_i32 s8, s0, 0x194
	s_mov_b32 s9, s1
	v_mov_b64_e32 v[2:3], s[8:9]
	global_store_dwordx2 v0, v[2:3], s[6:7] sc0 sc1
.LBB0_810:                              ;   Parent Loop BB0_1 Depth=1
                                        ; =>  This Inner Loop Header: Depth=2
	global_load_dwordx2 v[2:3], v0, s[4:5] sc0 sc1
	s_waitcnt vmcnt(0)
	v_cmp_ne_u64_e32 vcc, s[8:9], v[2:3]
	s_cbranch_vccnz .LBB0_810
; %bb.811:                              ;   in Loop: Header=BB0_1 Depth=1
	s_add_i32 s8, s0, 0x195
	s_mov_b32 s9, s1
	v_mov_b64_e32 v[2:3], s[8:9]
	global_store_dwordx2 v0, v[2:3], s[6:7] sc0 sc1
.LBB0_812:                              ;   Parent Loop BB0_1 Depth=1
                                        ; =>  This Inner Loop Header: Depth=2
	global_load_dwordx2 v[2:3], v0, s[4:5] sc0 sc1
	s_waitcnt vmcnt(0)
	v_cmp_ne_u64_e32 vcc, s[8:9], v[2:3]
	s_cbranch_vccnz .LBB0_812
; %bb.813:                              ;   in Loop: Header=BB0_1 Depth=1
	s_add_i32 s8, s0, 0x196
	s_mov_b32 s9, s1
	v_mov_b64_e32 v[2:3], s[8:9]
	global_store_dwordx2 v0, v[2:3], s[6:7] sc0 sc1
.LBB0_814:                              ;   Parent Loop BB0_1 Depth=1
                                        ; =>  This Inner Loop Header: Depth=2
	global_load_dwordx2 v[2:3], v0, s[4:5] sc0 sc1
	s_waitcnt vmcnt(0)
	v_cmp_ne_u64_e32 vcc, s[8:9], v[2:3]
	s_cbranch_vccnz .LBB0_814
; %bb.815:                              ;   in Loop: Header=BB0_1 Depth=1
	s_add_i32 s8, s0, 0x197
	s_mov_b32 s9, s1
	v_mov_b64_e32 v[2:3], s[8:9]
	global_store_dwordx2 v0, v[2:3], s[6:7] sc0 sc1
.LBB0_816:                              ;   Parent Loop BB0_1 Depth=1
                                        ; =>  This Inner Loop Header: Depth=2
	global_load_dwordx2 v[2:3], v0, s[4:5] sc0 sc1
	s_waitcnt vmcnt(0)
	v_cmp_ne_u64_e32 vcc, s[8:9], v[2:3]
	s_cbranch_vccnz .LBB0_816
; %bb.817:                              ;   in Loop: Header=BB0_1 Depth=1
	s_add_i32 s8, s0, 0x198
	s_mov_b32 s9, s1
	v_mov_b64_e32 v[2:3], s[8:9]
	global_store_dwordx2 v0, v[2:3], s[6:7] sc0 sc1
.LBB0_818:                              ;   Parent Loop BB0_1 Depth=1
                                        ; =>  This Inner Loop Header: Depth=2
	global_load_dwordx2 v[2:3], v0, s[4:5] sc0 sc1
	s_waitcnt vmcnt(0)
	v_cmp_ne_u64_e32 vcc, s[8:9], v[2:3]
	s_cbranch_vccnz .LBB0_818
; %bb.819:                              ;   in Loop: Header=BB0_1 Depth=1
	s_add_i32 s8, s0, 0x199
	s_mov_b32 s9, s1
	v_mov_b64_e32 v[2:3], s[8:9]
	global_store_dwordx2 v0, v[2:3], s[6:7] sc0 sc1
.LBB0_820:                              ;   Parent Loop BB0_1 Depth=1
                                        ; =>  This Inner Loop Header: Depth=2
	global_load_dwordx2 v[2:3], v0, s[4:5] sc0 sc1
	s_waitcnt vmcnt(0)
	v_cmp_ne_u64_e32 vcc, s[8:9], v[2:3]
	s_cbranch_vccnz .LBB0_820
; %bb.821:                              ;   in Loop: Header=BB0_1 Depth=1
	s_add_i32 s8, s0, 0x19a
	s_mov_b32 s9, s1
	v_mov_b64_e32 v[2:3], s[8:9]
	global_store_dwordx2 v0, v[2:3], s[6:7] sc0 sc1
.LBB0_822:                              ;   Parent Loop BB0_1 Depth=1
                                        ; =>  This Inner Loop Header: Depth=2
	global_load_dwordx2 v[2:3], v0, s[4:5] sc0 sc1
	s_waitcnt vmcnt(0)
	v_cmp_ne_u64_e32 vcc, s[8:9], v[2:3]
	s_cbranch_vccnz .LBB0_822
; %bb.823:                              ;   in Loop: Header=BB0_1 Depth=1
	s_add_i32 s8, s0, 0x19b
	s_mov_b32 s9, s1
	v_mov_b64_e32 v[2:3], s[8:9]
	global_store_dwordx2 v0, v[2:3], s[6:7] sc0 sc1
.LBB0_824:                              ;   Parent Loop BB0_1 Depth=1
                                        ; =>  This Inner Loop Header: Depth=2
	global_load_dwordx2 v[2:3], v0, s[4:5] sc0 sc1
	s_waitcnt vmcnt(0)
	v_cmp_ne_u64_e32 vcc, s[8:9], v[2:3]
	s_cbranch_vccnz .LBB0_824
; %bb.825:                              ;   in Loop: Header=BB0_1 Depth=1
	s_add_i32 s8, s0, 0x19c
	s_mov_b32 s9, s1
	v_mov_b64_e32 v[2:3], s[8:9]
	global_store_dwordx2 v0, v[2:3], s[6:7] sc0 sc1
.LBB0_826:                              ;   Parent Loop BB0_1 Depth=1
                                        ; =>  This Inner Loop Header: Depth=2
	global_load_dwordx2 v[2:3], v0, s[4:5] sc0 sc1
	s_waitcnt vmcnt(0)
	v_cmp_ne_u64_e32 vcc, s[8:9], v[2:3]
	s_cbranch_vccnz .LBB0_826
; %bb.827:                              ;   in Loop: Header=BB0_1 Depth=1
	s_add_i32 s8, s0, 0x19d
	s_mov_b32 s9, s1
	v_mov_b64_e32 v[2:3], s[8:9]
	global_store_dwordx2 v0, v[2:3], s[6:7] sc0 sc1
.LBB0_828:                              ;   Parent Loop BB0_1 Depth=1
                                        ; =>  This Inner Loop Header: Depth=2
	global_load_dwordx2 v[2:3], v0, s[4:5] sc0 sc1
	s_waitcnt vmcnt(0)
	v_cmp_ne_u64_e32 vcc, s[8:9], v[2:3]
	s_cbranch_vccnz .LBB0_828
; %bb.829:                              ;   in Loop: Header=BB0_1 Depth=1
	s_add_i32 s8, s0, 0x19e
	s_mov_b32 s9, s1
	v_mov_b64_e32 v[2:3], s[8:9]
	global_store_dwordx2 v0, v[2:3], s[6:7] sc0 sc1
.LBB0_830:                              ;   Parent Loop BB0_1 Depth=1
                                        ; =>  This Inner Loop Header: Depth=2
	global_load_dwordx2 v[2:3], v0, s[4:5] sc0 sc1
	s_waitcnt vmcnt(0)
	v_cmp_ne_u64_e32 vcc, s[8:9], v[2:3]
	s_cbranch_vccnz .LBB0_830
; %bb.831:                              ;   in Loop: Header=BB0_1 Depth=1
	s_add_i32 s8, s0, 0x19f
	s_mov_b32 s9, s1
	v_mov_b64_e32 v[2:3], s[8:9]
	global_store_dwordx2 v0, v[2:3], s[6:7] sc0 sc1
.LBB0_832:                              ;   Parent Loop BB0_1 Depth=1
                                        ; =>  This Inner Loop Header: Depth=2
	global_load_dwordx2 v[2:3], v0, s[4:5] sc0 sc1
	s_waitcnt vmcnt(0)
	v_cmp_ne_u64_e32 vcc, s[8:9], v[2:3]
	s_cbranch_vccnz .LBB0_832
; %bb.833:                              ;   in Loop: Header=BB0_1 Depth=1
	s_add_i32 s8, s0, 0x1a0
	s_mov_b32 s9, s1
	v_mov_b64_e32 v[2:3], s[8:9]
	global_store_dwordx2 v0, v[2:3], s[6:7] sc0 sc1
.LBB0_834:                              ;   Parent Loop BB0_1 Depth=1
                                        ; =>  This Inner Loop Header: Depth=2
	global_load_dwordx2 v[2:3], v0, s[4:5] sc0 sc1
	s_waitcnt vmcnt(0)
	v_cmp_ne_u64_e32 vcc, s[8:9], v[2:3]
	s_cbranch_vccnz .LBB0_834
; %bb.835:                              ;   in Loop: Header=BB0_1 Depth=1
	s_add_i32 s8, s0, 0x1a1
	s_mov_b32 s9, s1
	v_mov_b64_e32 v[2:3], s[8:9]
	global_store_dwordx2 v0, v[2:3], s[6:7] sc0 sc1
.LBB0_836:                              ;   Parent Loop BB0_1 Depth=1
                                        ; =>  This Inner Loop Header: Depth=2
	global_load_dwordx2 v[2:3], v0, s[4:5] sc0 sc1
	s_waitcnt vmcnt(0)
	v_cmp_ne_u64_e32 vcc, s[8:9], v[2:3]
	s_cbranch_vccnz .LBB0_836
; %bb.837:                              ;   in Loop: Header=BB0_1 Depth=1
	s_add_i32 s8, s0, 0x1a2
	s_mov_b32 s9, s1
	v_mov_b64_e32 v[2:3], s[8:9]
	global_store_dwordx2 v0, v[2:3], s[6:7] sc0 sc1
.LBB0_838:                              ;   Parent Loop BB0_1 Depth=1
                                        ; =>  This Inner Loop Header: Depth=2
	global_load_dwordx2 v[2:3], v0, s[4:5] sc0 sc1
	s_waitcnt vmcnt(0)
	v_cmp_ne_u64_e32 vcc, s[8:9], v[2:3]
	s_cbranch_vccnz .LBB0_838
; %bb.839:                              ;   in Loop: Header=BB0_1 Depth=1
	s_add_i32 s8, s0, 0x1a3
	s_mov_b32 s9, s1
	v_mov_b64_e32 v[2:3], s[8:9]
	global_store_dwordx2 v0, v[2:3], s[6:7] sc0 sc1
.LBB0_840:                              ;   Parent Loop BB0_1 Depth=1
                                        ; =>  This Inner Loop Header: Depth=2
	global_load_dwordx2 v[2:3], v0, s[4:5] sc0 sc1
	s_waitcnt vmcnt(0)
	v_cmp_ne_u64_e32 vcc, s[8:9], v[2:3]
	s_cbranch_vccnz .LBB0_840
; %bb.841:                              ;   in Loop: Header=BB0_1 Depth=1
	s_add_i32 s8, s0, 0x1a4
	s_mov_b32 s9, s1
	v_mov_b64_e32 v[2:3], s[8:9]
	global_store_dwordx2 v0, v[2:3], s[6:7] sc0 sc1
.LBB0_842:                              ;   Parent Loop BB0_1 Depth=1
                                        ; =>  This Inner Loop Header: Depth=2
	global_load_dwordx2 v[2:3], v0, s[4:5] sc0 sc1
	s_waitcnt vmcnt(0)
	v_cmp_ne_u64_e32 vcc, s[8:9], v[2:3]
	s_cbranch_vccnz .LBB0_842
; %bb.843:                              ;   in Loop: Header=BB0_1 Depth=1
	s_add_i32 s8, s0, 0x1a5
	s_mov_b32 s9, s1
	v_mov_b64_e32 v[2:3], s[8:9]
	global_store_dwordx2 v0, v[2:3], s[6:7] sc0 sc1
.LBB0_844:                              ;   Parent Loop BB0_1 Depth=1
                                        ; =>  This Inner Loop Header: Depth=2
	global_load_dwordx2 v[2:3], v0, s[4:5] sc0 sc1
	s_waitcnt vmcnt(0)
	v_cmp_ne_u64_e32 vcc, s[8:9], v[2:3]
	s_cbranch_vccnz .LBB0_844
; %bb.845:                              ;   in Loop: Header=BB0_1 Depth=1
	s_add_i32 s8, s0, 0x1a6
	s_mov_b32 s9, s1
	v_mov_b64_e32 v[2:3], s[8:9]
	global_store_dwordx2 v0, v[2:3], s[6:7] sc0 sc1
.LBB0_846:                              ;   Parent Loop BB0_1 Depth=1
                                        ; =>  This Inner Loop Header: Depth=2
	global_load_dwordx2 v[2:3], v0, s[4:5] sc0 sc1
	s_waitcnt vmcnt(0)
	v_cmp_ne_u64_e32 vcc, s[8:9], v[2:3]
	s_cbranch_vccnz .LBB0_846
; %bb.847:                              ;   in Loop: Header=BB0_1 Depth=1
	s_add_i32 s8, s0, 0x1a7
	s_mov_b32 s9, s1
	v_mov_b64_e32 v[2:3], s[8:9]
	global_store_dwordx2 v0, v[2:3], s[6:7] sc0 sc1
.LBB0_848:                              ;   Parent Loop BB0_1 Depth=1
                                        ; =>  This Inner Loop Header: Depth=2
	global_load_dwordx2 v[2:3], v0, s[4:5] sc0 sc1
	s_waitcnt vmcnt(0)
	v_cmp_ne_u64_e32 vcc, s[8:9], v[2:3]
	s_cbranch_vccnz .LBB0_848
; %bb.849:                              ;   in Loop: Header=BB0_1 Depth=1
	s_add_i32 s8, s0, 0x1a8
	s_mov_b32 s9, s1
	v_mov_b64_e32 v[2:3], s[8:9]
	global_store_dwordx2 v0, v[2:3], s[6:7] sc0 sc1
.LBB0_850:                              ;   Parent Loop BB0_1 Depth=1
                                        ; =>  This Inner Loop Header: Depth=2
	global_load_dwordx2 v[2:3], v0, s[4:5] sc0 sc1
	s_waitcnt vmcnt(0)
	v_cmp_ne_u64_e32 vcc, s[8:9], v[2:3]
	s_cbranch_vccnz .LBB0_850
; %bb.851:                              ;   in Loop: Header=BB0_1 Depth=1
	s_add_i32 s8, s0, 0x1a9
	s_mov_b32 s9, s1
	v_mov_b64_e32 v[2:3], s[8:9]
	global_store_dwordx2 v0, v[2:3], s[6:7] sc0 sc1
.LBB0_852:                              ;   Parent Loop BB0_1 Depth=1
                                        ; =>  This Inner Loop Header: Depth=2
	global_load_dwordx2 v[2:3], v0, s[4:5] sc0 sc1
	s_waitcnt vmcnt(0)
	v_cmp_ne_u64_e32 vcc, s[8:9], v[2:3]
	s_cbranch_vccnz .LBB0_852
; %bb.853:                              ;   in Loop: Header=BB0_1 Depth=1
	s_add_i32 s8, s0, 0x1aa
	s_mov_b32 s9, s1
	v_mov_b64_e32 v[2:3], s[8:9]
	global_store_dwordx2 v0, v[2:3], s[6:7] sc0 sc1
.LBB0_854:                              ;   Parent Loop BB0_1 Depth=1
                                        ; =>  This Inner Loop Header: Depth=2
	global_load_dwordx2 v[2:3], v0, s[4:5] sc0 sc1
	s_waitcnt vmcnt(0)
	v_cmp_ne_u64_e32 vcc, s[8:9], v[2:3]
	s_cbranch_vccnz .LBB0_854
; %bb.855:                              ;   in Loop: Header=BB0_1 Depth=1
	s_add_i32 s8, s0, 0x1ab
	s_mov_b32 s9, s1
	v_mov_b64_e32 v[2:3], s[8:9]
	global_store_dwordx2 v0, v[2:3], s[6:7] sc0 sc1
.LBB0_856:                              ;   Parent Loop BB0_1 Depth=1
                                        ; =>  This Inner Loop Header: Depth=2
	global_load_dwordx2 v[2:3], v0, s[4:5] sc0 sc1
	s_waitcnt vmcnt(0)
	v_cmp_ne_u64_e32 vcc, s[8:9], v[2:3]
	s_cbranch_vccnz .LBB0_856
; %bb.857:                              ;   in Loop: Header=BB0_1 Depth=1
	s_add_i32 s8, s0, 0x1ac
	s_mov_b32 s9, s1
	v_mov_b64_e32 v[2:3], s[8:9]
	global_store_dwordx2 v0, v[2:3], s[6:7] sc0 sc1
.LBB0_858:                              ;   Parent Loop BB0_1 Depth=1
                                        ; =>  This Inner Loop Header: Depth=2
	global_load_dwordx2 v[2:3], v0, s[4:5] sc0 sc1
	s_waitcnt vmcnt(0)
	v_cmp_ne_u64_e32 vcc, s[8:9], v[2:3]
	s_cbranch_vccnz .LBB0_858
; %bb.859:                              ;   in Loop: Header=BB0_1 Depth=1
	s_add_i32 s8, s0, 0x1ad
	s_mov_b32 s9, s1
	v_mov_b64_e32 v[2:3], s[8:9]
	global_store_dwordx2 v0, v[2:3], s[6:7] sc0 sc1
.LBB0_860:                              ;   Parent Loop BB0_1 Depth=1
                                        ; =>  This Inner Loop Header: Depth=2
	global_load_dwordx2 v[2:3], v0, s[4:5] sc0 sc1
	s_waitcnt vmcnt(0)
	v_cmp_ne_u64_e32 vcc, s[8:9], v[2:3]
	s_cbranch_vccnz .LBB0_860
; %bb.861:                              ;   in Loop: Header=BB0_1 Depth=1
	s_add_i32 s8, s0, 0x1ae
	s_mov_b32 s9, s1
	v_mov_b64_e32 v[2:3], s[8:9]
	global_store_dwordx2 v0, v[2:3], s[6:7] sc0 sc1
.LBB0_862:                              ;   Parent Loop BB0_1 Depth=1
                                        ; =>  This Inner Loop Header: Depth=2
	global_load_dwordx2 v[2:3], v0, s[4:5] sc0 sc1
	s_waitcnt vmcnt(0)
	v_cmp_ne_u64_e32 vcc, s[8:9], v[2:3]
	s_cbranch_vccnz .LBB0_862
; %bb.863:                              ;   in Loop: Header=BB0_1 Depth=1
	s_add_i32 s8, s0, 0x1af
	s_mov_b32 s9, s1
	v_mov_b64_e32 v[2:3], s[8:9]
	global_store_dwordx2 v0, v[2:3], s[6:7] sc0 sc1
.LBB0_864:                              ;   Parent Loop BB0_1 Depth=1
                                        ; =>  This Inner Loop Header: Depth=2
	global_load_dwordx2 v[2:3], v0, s[4:5] sc0 sc1
	s_waitcnt vmcnt(0)
	v_cmp_ne_u64_e32 vcc, s[8:9], v[2:3]
	s_cbranch_vccnz .LBB0_864
; %bb.865:                              ;   in Loop: Header=BB0_1 Depth=1
	s_add_i32 s8, s0, 0x1b0
	s_mov_b32 s9, s1
	v_mov_b64_e32 v[2:3], s[8:9]
	global_store_dwordx2 v0, v[2:3], s[6:7] sc0 sc1
.LBB0_866:                              ;   Parent Loop BB0_1 Depth=1
                                        ; =>  This Inner Loop Header: Depth=2
	global_load_dwordx2 v[2:3], v0, s[4:5] sc0 sc1
	s_waitcnt vmcnt(0)
	v_cmp_ne_u64_e32 vcc, s[8:9], v[2:3]
	s_cbranch_vccnz .LBB0_866
; %bb.867:                              ;   in Loop: Header=BB0_1 Depth=1
	s_add_i32 s8, s0, 0x1b1
	s_mov_b32 s9, s1
	v_mov_b64_e32 v[2:3], s[8:9]
	global_store_dwordx2 v0, v[2:3], s[6:7] sc0 sc1
.LBB0_868:                              ;   Parent Loop BB0_1 Depth=1
                                        ; =>  This Inner Loop Header: Depth=2
	global_load_dwordx2 v[2:3], v0, s[4:5] sc0 sc1
	s_waitcnt vmcnt(0)
	v_cmp_ne_u64_e32 vcc, s[8:9], v[2:3]
	s_cbranch_vccnz .LBB0_868
; %bb.869:                              ;   in Loop: Header=BB0_1 Depth=1
	s_add_i32 s8, s0, 0x1b2
	s_mov_b32 s9, s1
	v_mov_b64_e32 v[2:3], s[8:9]
	global_store_dwordx2 v0, v[2:3], s[6:7] sc0 sc1
.LBB0_870:                              ;   Parent Loop BB0_1 Depth=1
                                        ; =>  This Inner Loop Header: Depth=2
	global_load_dwordx2 v[2:3], v0, s[4:5] sc0 sc1
	s_waitcnt vmcnt(0)
	v_cmp_ne_u64_e32 vcc, s[8:9], v[2:3]
	s_cbranch_vccnz .LBB0_870
; %bb.871:                              ;   in Loop: Header=BB0_1 Depth=1
	s_add_i32 s8, s0, 0x1b3
	s_mov_b32 s9, s1
	v_mov_b64_e32 v[2:3], s[8:9]
	global_store_dwordx2 v0, v[2:3], s[6:7] sc0 sc1
.LBB0_872:                              ;   Parent Loop BB0_1 Depth=1
                                        ; =>  This Inner Loop Header: Depth=2
	global_load_dwordx2 v[2:3], v0, s[4:5] sc0 sc1
	s_waitcnt vmcnt(0)
	v_cmp_ne_u64_e32 vcc, s[8:9], v[2:3]
	s_cbranch_vccnz .LBB0_872
; %bb.873:                              ;   in Loop: Header=BB0_1 Depth=1
	s_add_i32 s8, s0, 0x1b4
	s_mov_b32 s9, s1
	v_mov_b64_e32 v[2:3], s[8:9]
	global_store_dwordx2 v0, v[2:3], s[6:7] sc0 sc1
.LBB0_874:                              ;   Parent Loop BB0_1 Depth=1
                                        ; =>  This Inner Loop Header: Depth=2
	global_load_dwordx2 v[2:3], v0, s[4:5] sc0 sc1
	s_waitcnt vmcnt(0)
	v_cmp_ne_u64_e32 vcc, s[8:9], v[2:3]
	s_cbranch_vccnz .LBB0_874
; %bb.875:                              ;   in Loop: Header=BB0_1 Depth=1
	s_add_i32 s8, s0, 0x1b5
	s_mov_b32 s9, s1
	v_mov_b64_e32 v[2:3], s[8:9]
	global_store_dwordx2 v0, v[2:3], s[6:7] sc0 sc1
.LBB0_876:                              ;   Parent Loop BB0_1 Depth=1
                                        ; =>  This Inner Loop Header: Depth=2
	global_load_dwordx2 v[2:3], v0, s[4:5] sc0 sc1
	s_waitcnt vmcnt(0)
	v_cmp_ne_u64_e32 vcc, s[8:9], v[2:3]
	s_cbranch_vccnz .LBB0_876
; %bb.877:                              ;   in Loop: Header=BB0_1 Depth=1
	s_add_i32 s8, s0, 0x1b6
	s_mov_b32 s9, s1
	v_mov_b64_e32 v[2:3], s[8:9]
	global_store_dwordx2 v0, v[2:3], s[6:7] sc0 sc1
.LBB0_878:                              ;   Parent Loop BB0_1 Depth=1
                                        ; =>  This Inner Loop Header: Depth=2
	global_load_dwordx2 v[2:3], v0, s[4:5] sc0 sc1
	s_waitcnt vmcnt(0)
	v_cmp_ne_u64_e32 vcc, s[8:9], v[2:3]
	s_cbranch_vccnz .LBB0_878
; %bb.879:                              ;   in Loop: Header=BB0_1 Depth=1
	s_add_i32 s8, s0, 0x1b7
	s_mov_b32 s9, s1
	v_mov_b64_e32 v[2:3], s[8:9]
	global_store_dwordx2 v0, v[2:3], s[6:7] sc0 sc1
.LBB0_880:                              ;   Parent Loop BB0_1 Depth=1
                                        ; =>  This Inner Loop Header: Depth=2
	global_load_dwordx2 v[2:3], v0, s[4:5] sc0 sc1
	s_waitcnt vmcnt(0)
	v_cmp_ne_u64_e32 vcc, s[8:9], v[2:3]
	s_cbranch_vccnz .LBB0_880
; %bb.881:                              ;   in Loop: Header=BB0_1 Depth=1
	s_add_i32 s8, s0, 0x1b8
	s_mov_b32 s9, s1
	v_mov_b64_e32 v[2:3], s[8:9]
	global_store_dwordx2 v0, v[2:3], s[6:7] sc0 sc1
.LBB0_882:                              ;   Parent Loop BB0_1 Depth=1
                                        ; =>  This Inner Loop Header: Depth=2
	global_load_dwordx2 v[2:3], v0, s[4:5] sc0 sc1
	s_waitcnt vmcnt(0)
	v_cmp_ne_u64_e32 vcc, s[8:9], v[2:3]
	s_cbranch_vccnz .LBB0_882
; %bb.883:                              ;   in Loop: Header=BB0_1 Depth=1
	s_add_i32 s8, s0, 0x1b9
	s_mov_b32 s9, s1
	v_mov_b64_e32 v[2:3], s[8:9]
	global_store_dwordx2 v0, v[2:3], s[6:7] sc0 sc1
.LBB0_884:                              ;   Parent Loop BB0_1 Depth=1
                                        ; =>  This Inner Loop Header: Depth=2
	global_load_dwordx2 v[2:3], v0, s[4:5] sc0 sc1
	s_waitcnt vmcnt(0)
	v_cmp_ne_u64_e32 vcc, s[8:9], v[2:3]
	s_cbranch_vccnz .LBB0_884
; %bb.885:                              ;   in Loop: Header=BB0_1 Depth=1
	s_add_i32 s8, s0, 0x1ba
	s_mov_b32 s9, s1
	v_mov_b64_e32 v[2:3], s[8:9]
	global_store_dwordx2 v0, v[2:3], s[6:7] sc0 sc1
.LBB0_886:                              ;   Parent Loop BB0_1 Depth=1
                                        ; =>  This Inner Loop Header: Depth=2
	global_load_dwordx2 v[2:3], v0, s[4:5] sc0 sc1
	s_waitcnt vmcnt(0)
	v_cmp_ne_u64_e32 vcc, s[8:9], v[2:3]
	s_cbranch_vccnz .LBB0_886
; %bb.887:                              ;   in Loop: Header=BB0_1 Depth=1
	s_add_i32 s8, s0, 0x1bb
	s_mov_b32 s9, s1
	v_mov_b64_e32 v[2:3], s[8:9]
	global_store_dwordx2 v0, v[2:3], s[6:7] sc0 sc1
.LBB0_888:                              ;   Parent Loop BB0_1 Depth=1
                                        ; =>  This Inner Loop Header: Depth=2
	global_load_dwordx2 v[2:3], v0, s[4:5] sc0 sc1
	s_waitcnt vmcnt(0)
	v_cmp_ne_u64_e32 vcc, s[8:9], v[2:3]
	s_cbranch_vccnz .LBB0_888
; %bb.889:                              ;   in Loop: Header=BB0_1 Depth=1
	s_add_i32 s8, s0, 0x1bc
	s_mov_b32 s9, s1
	v_mov_b64_e32 v[2:3], s[8:9]
	global_store_dwordx2 v0, v[2:3], s[6:7] sc0 sc1
.LBB0_890:                              ;   Parent Loop BB0_1 Depth=1
                                        ; =>  This Inner Loop Header: Depth=2
	global_load_dwordx2 v[2:3], v0, s[4:5] sc0 sc1
	s_waitcnt vmcnt(0)
	v_cmp_ne_u64_e32 vcc, s[8:9], v[2:3]
	s_cbranch_vccnz .LBB0_890
; %bb.891:                              ;   in Loop: Header=BB0_1 Depth=1
	s_add_i32 s8, s0, 0x1bd
	s_mov_b32 s9, s1
	v_mov_b64_e32 v[2:3], s[8:9]
	global_store_dwordx2 v0, v[2:3], s[6:7] sc0 sc1
.LBB0_892:                              ;   Parent Loop BB0_1 Depth=1
                                        ; =>  This Inner Loop Header: Depth=2
	global_load_dwordx2 v[2:3], v0, s[4:5] sc0 sc1
	s_waitcnt vmcnt(0)
	v_cmp_ne_u64_e32 vcc, s[8:9], v[2:3]
	s_cbranch_vccnz .LBB0_892
; %bb.893:                              ;   in Loop: Header=BB0_1 Depth=1
	s_add_i32 s8, s0, 0x1be
	s_mov_b32 s9, s1
	v_mov_b64_e32 v[2:3], s[8:9]
	global_store_dwordx2 v0, v[2:3], s[6:7] sc0 sc1
.LBB0_894:                              ;   Parent Loop BB0_1 Depth=1
                                        ; =>  This Inner Loop Header: Depth=2
	global_load_dwordx2 v[2:3], v0, s[4:5] sc0 sc1
	s_waitcnt vmcnt(0)
	v_cmp_ne_u64_e32 vcc, s[8:9], v[2:3]
	s_cbranch_vccnz .LBB0_894
; %bb.895:                              ;   in Loop: Header=BB0_1 Depth=1
	s_add_i32 s8, s0, 0x1bf
	s_mov_b32 s9, s1
	v_mov_b64_e32 v[2:3], s[8:9]
	global_store_dwordx2 v0, v[2:3], s[6:7] sc0 sc1
.LBB0_896:                              ;   Parent Loop BB0_1 Depth=1
                                        ; =>  This Inner Loop Header: Depth=2
	global_load_dwordx2 v[2:3], v0, s[4:5] sc0 sc1
	s_waitcnt vmcnt(0)
	v_cmp_ne_u64_e32 vcc, s[8:9], v[2:3]
	s_cbranch_vccnz .LBB0_896
; %bb.897:                              ;   in Loop: Header=BB0_1 Depth=1
	s_add_i32 s8, s0, 0x1c0
	s_mov_b32 s9, s1
	v_mov_b64_e32 v[2:3], s[8:9]
	global_store_dwordx2 v0, v[2:3], s[6:7] sc0 sc1
.LBB0_898:                              ;   Parent Loop BB0_1 Depth=1
                                        ; =>  This Inner Loop Header: Depth=2
	global_load_dwordx2 v[2:3], v0, s[4:5] sc0 sc1
	s_waitcnt vmcnt(0)
	v_cmp_ne_u64_e32 vcc, s[8:9], v[2:3]
	s_cbranch_vccnz .LBB0_898
; %bb.899:                              ;   in Loop: Header=BB0_1 Depth=1
	s_add_i32 s8, s0, 0x1c1
	s_mov_b32 s9, s1
	v_mov_b64_e32 v[2:3], s[8:9]
	global_store_dwordx2 v0, v[2:3], s[6:7] sc0 sc1
.LBB0_900:                              ;   Parent Loop BB0_1 Depth=1
                                        ; =>  This Inner Loop Header: Depth=2
	global_load_dwordx2 v[2:3], v0, s[4:5] sc0 sc1
	s_waitcnt vmcnt(0)
	v_cmp_ne_u64_e32 vcc, s[8:9], v[2:3]
	s_cbranch_vccnz .LBB0_900
; %bb.901:                              ;   in Loop: Header=BB0_1 Depth=1
	s_add_i32 s8, s0, 0x1c2
	s_mov_b32 s9, s1
	v_mov_b64_e32 v[2:3], s[8:9]
	global_store_dwordx2 v0, v[2:3], s[6:7] sc0 sc1
.LBB0_902:                              ;   Parent Loop BB0_1 Depth=1
                                        ; =>  This Inner Loop Header: Depth=2
	global_load_dwordx2 v[2:3], v0, s[4:5] sc0 sc1
	s_waitcnt vmcnt(0)
	v_cmp_ne_u64_e32 vcc, s[8:9], v[2:3]
	s_cbranch_vccnz .LBB0_902
; %bb.903:                              ;   in Loop: Header=BB0_1 Depth=1
	s_add_i32 s8, s0, 0x1c3
	s_mov_b32 s9, s1
	v_mov_b64_e32 v[2:3], s[8:9]
	global_store_dwordx2 v0, v[2:3], s[6:7] sc0 sc1
.LBB0_904:                              ;   Parent Loop BB0_1 Depth=1
                                        ; =>  This Inner Loop Header: Depth=2
	global_load_dwordx2 v[2:3], v0, s[4:5] sc0 sc1
	s_waitcnt vmcnt(0)
	v_cmp_ne_u64_e32 vcc, s[8:9], v[2:3]
	s_cbranch_vccnz .LBB0_904
; %bb.905:                              ;   in Loop: Header=BB0_1 Depth=1
	s_add_i32 s8, s0, 0x1c4
	s_mov_b32 s9, s1
	v_mov_b64_e32 v[2:3], s[8:9]
	global_store_dwordx2 v0, v[2:3], s[6:7] sc0 sc1
.LBB0_906:                              ;   Parent Loop BB0_1 Depth=1
                                        ; =>  This Inner Loop Header: Depth=2
	global_load_dwordx2 v[2:3], v0, s[4:5] sc0 sc1
	s_waitcnt vmcnt(0)
	v_cmp_ne_u64_e32 vcc, s[8:9], v[2:3]
	s_cbranch_vccnz .LBB0_906
; %bb.907:                              ;   in Loop: Header=BB0_1 Depth=1
	s_add_i32 s8, s0, 0x1c5
	s_mov_b32 s9, s1
	v_mov_b64_e32 v[2:3], s[8:9]
	global_store_dwordx2 v0, v[2:3], s[6:7] sc0 sc1
.LBB0_908:                              ;   Parent Loop BB0_1 Depth=1
                                        ; =>  This Inner Loop Header: Depth=2
	global_load_dwordx2 v[2:3], v0, s[4:5] sc0 sc1
	s_waitcnt vmcnt(0)
	v_cmp_ne_u64_e32 vcc, s[8:9], v[2:3]
	s_cbranch_vccnz .LBB0_908
; %bb.909:                              ;   in Loop: Header=BB0_1 Depth=1
	s_add_i32 s8, s0, 0x1c6
	s_mov_b32 s9, s1
	v_mov_b64_e32 v[2:3], s[8:9]
	global_store_dwordx2 v0, v[2:3], s[6:7] sc0 sc1
.LBB0_910:                              ;   Parent Loop BB0_1 Depth=1
                                        ; =>  This Inner Loop Header: Depth=2
	global_load_dwordx2 v[2:3], v0, s[4:5] sc0 sc1
	s_waitcnt vmcnt(0)
	v_cmp_ne_u64_e32 vcc, s[8:9], v[2:3]
	s_cbranch_vccnz .LBB0_910
; %bb.911:                              ;   in Loop: Header=BB0_1 Depth=1
	s_add_i32 s8, s0, 0x1c7
	s_mov_b32 s9, s1
	v_mov_b64_e32 v[2:3], s[8:9]
	global_store_dwordx2 v0, v[2:3], s[6:7] sc0 sc1
.LBB0_912:                              ;   Parent Loop BB0_1 Depth=1
                                        ; =>  This Inner Loop Header: Depth=2
	global_load_dwordx2 v[2:3], v0, s[4:5] sc0 sc1
	s_waitcnt vmcnt(0)
	v_cmp_ne_u64_e32 vcc, s[8:9], v[2:3]
	s_cbranch_vccnz .LBB0_912
; %bb.913:                              ;   in Loop: Header=BB0_1 Depth=1
	s_add_i32 s8, s0, 0x1c8
	s_mov_b32 s9, s1
	v_mov_b64_e32 v[2:3], s[8:9]
	global_store_dwordx2 v0, v[2:3], s[6:7] sc0 sc1
.LBB0_914:                              ;   Parent Loop BB0_1 Depth=1
                                        ; =>  This Inner Loop Header: Depth=2
	global_load_dwordx2 v[2:3], v0, s[4:5] sc0 sc1
	s_waitcnt vmcnt(0)
	v_cmp_ne_u64_e32 vcc, s[8:9], v[2:3]
	s_cbranch_vccnz .LBB0_914
; %bb.915:                              ;   in Loop: Header=BB0_1 Depth=1
	s_add_i32 s8, s0, 0x1c9
	s_mov_b32 s9, s1
	v_mov_b64_e32 v[2:3], s[8:9]
	global_store_dwordx2 v0, v[2:3], s[6:7] sc0 sc1
.LBB0_916:                              ;   Parent Loop BB0_1 Depth=1
                                        ; =>  This Inner Loop Header: Depth=2
	global_load_dwordx2 v[2:3], v0, s[4:5] sc0 sc1
	s_waitcnt vmcnt(0)
	v_cmp_ne_u64_e32 vcc, s[8:9], v[2:3]
	s_cbranch_vccnz .LBB0_916
; %bb.917:                              ;   in Loop: Header=BB0_1 Depth=1
	s_add_i32 s8, s0, 0x1ca
	s_mov_b32 s9, s1
	v_mov_b64_e32 v[2:3], s[8:9]
	global_store_dwordx2 v0, v[2:3], s[6:7] sc0 sc1
.LBB0_918:                              ;   Parent Loop BB0_1 Depth=1
                                        ; =>  This Inner Loop Header: Depth=2
	global_load_dwordx2 v[2:3], v0, s[4:5] sc0 sc1
	s_waitcnt vmcnt(0)
	v_cmp_ne_u64_e32 vcc, s[8:9], v[2:3]
	s_cbranch_vccnz .LBB0_918
; %bb.919:                              ;   in Loop: Header=BB0_1 Depth=1
	s_add_i32 s8, s0, 0x1cb
	s_mov_b32 s9, s1
	v_mov_b64_e32 v[2:3], s[8:9]
	global_store_dwordx2 v0, v[2:3], s[6:7] sc0 sc1
.LBB0_920:                              ;   Parent Loop BB0_1 Depth=1
                                        ; =>  This Inner Loop Header: Depth=2
	global_load_dwordx2 v[2:3], v0, s[4:5] sc0 sc1
	s_waitcnt vmcnt(0)
	v_cmp_ne_u64_e32 vcc, s[8:9], v[2:3]
	s_cbranch_vccnz .LBB0_920
; %bb.921:                              ;   in Loop: Header=BB0_1 Depth=1
	s_add_i32 s8, s0, 0x1cc
	s_mov_b32 s9, s1
	v_mov_b64_e32 v[2:3], s[8:9]
	global_store_dwordx2 v0, v[2:3], s[6:7] sc0 sc1
.LBB0_922:                              ;   Parent Loop BB0_1 Depth=1
                                        ; =>  This Inner Loop Header: Depth=2
	global_load_dwordx2 v[2:3], v0, s[4:5] sc0 sc1
	s_waitcnt vmcnt(0)
	v_cmp_ne_u64_e32 vcc, s[8:9], v[2:3]
	s_cbranch_vccnz .LBB0_922
; %bb.923:                              ;   in Loop: Header=BB0_1 Depth=1
	s_add_i32 s8, s0, 0x1cd
	s_mov_b32 s9, s1
	v_mov_b64_e32 v[2:3], s[8:9]
	global_store_dwordx2 v0, v[2:3], s[6:7] sc0 sc1
.LBB0_924:                              ;   Parent Loop BB0_1 Depth=1
                                        ; =>  This Inner Loop Header: Depth=2
	global_load_dwordx2 v[2:3], v0, s[4:5] sc0 sc1
	s_waitcnt vmcnt(0)
	v_cmp_ne_u64_e32 vcc, s[8:9], v[2:3]
	s_cbranch_vccnz .LBB0_924
; %bb.925:                              ;   in Loop: Header=BB0_1 Depth=1
	s_add_i32 s8, s0, 0x1ce
	s_mov_b32 s9, s1
	v_mov_b64_e32 v[2:3], s[8:9]
	global_store_dwordx2 v0, v[2:3], s[6:7] sc0 sc1
.LBB0_926:                              ;   Parent Loop BB0_1 Depth=1
                                        ; =>  This Inner Loop Header: Depth=2
	global_load_dwordx2 v[2:3], v0, s[4:5] sc0 sc1
	s_waitcnt vmcnt(0)
	v_cmp_ne_u64_e32 vcc, s[8:9], v[2:3]
	s_cbranch_vccnz .LBB0_926
; %bb.927:                              ;   in Loop: Header=BB0_1 Depth=1
	s_add_i32 s8, s0, 0x1cf
	s_mov_b32 s9, s1
	v_mov_b64_e32 v[2:3], s[8:9]
	global_store_dwordx2 v0, v[2:3], s[6:7] sc0 sc1
.LBB0_928:                              ;   Parent Loop BB0_1 Depth=1
                                        ; =>  This Inner Loop Header: Depth=2
	global_load_dwordx2 v[2:3], v0, s[4:5] sc0 sc1
	s_waitcnt vmcnt(0)
	v_cmp_ne_u64_e32 vcc, s[8:9], v[2:3]
	s_cbranch_vccnz .LBB0_928
; %bb.929:                              ;   in Loop: Header=BB0_1 Depth=1
	s_add_i32 s8, s0, 0x1d0
	s_mov_b32 s9, s1
	v_mov_b64_e32 v[2:3], s[8:9]
	global_store_dwordx2 v0, v[2:3], s[6:7] sc0 sc1
.LBB0_930:                              ;   Parent Loop BB0_1 Depth=1
                                        ; =>  This Inner Loop Header: Depth=2
	global_load_dwordx2 v[2:3], v0, s[4:5] sc0 sc1
	s_waitcnt vmcnt(0)
	v_cmp_ne_u64_e32 vcc, s[8:9], v[2:3]
	s_cbranch_vccnz .LBB0_930
; %bb.931:                              ;   in Loop: Header=BB0_1 Depth=1
	s_add_i32 s8, s0, 0x1d1
	s_mov_b32 s9, s1
	v_mov_b64_e32 v[2:3], s[8:9]
	global_store_dwordx2 v0, v[2:3], s[6:7] sc0 sc1
.LBB0_932:                              ;   Parent Loop BB0_1 Depth=1
                                        ; =>  This Inner Loop Header: Depth=2
	global_load_dwordx2 v[2:3], v0, s[4:5] sc0 sc1
	s_waitcnt vmcnt(0)
	v_cmp_ne_u64_e32 vcc, s[8:9], v[2:3]
	s_cbranch_vccnz .LBB0_932
; %bb.933:                              ;   in Loop: Header=BB0_1 Depth=1
	s_add_i32 s8, s0, 0x1d2
	s_mov_b32 s9, s1
	v_mov_b64_e32 v[2:3], s[8:9]
	global_store_dwordx2 v0, v[2:3], s[6:7] sc0 sc1
.LBB0_934:                              ;   Parent Loop BB0_1 Depth=1
                                        ; =>  This Inner Loop Header: Depth=2
	global_load_dwordx2 v[2:3], v0, s[4:5] sc0 sc1
	s_waitcnt vmcnt(0)
	v_cmp_ne_u64_e32 vcc, s[8:9], v[2:3]
	s_cbranch_vccnz .LBB0_934
; %bb.935:                              ;   in Loop: Header=BB0_1 Depth=1
	s_add_i32 s8, s0, 0x1d3
	s_mov_b32 s9, s1
	v_mov_b64_e32 v[2:3], s[8:9]
	global_store_dwordx2 v0, v[2:3], s[6:7] sc0 sc1
.LBB0_936:                              ;   Parent Loop BB0_1 Depth=1
                                        ; =>  This Inner Loop Header: Depth=2
	global_load_dwordx2 v[2:3], v0, s[4:5] sc0 sc1
	s_waitcnt vmcnt(0)
	v_cmp_ne_u64_e32 vcc, s[8:9], v[2:3]
	s_cbranch_vccnz .LBB0_936
; %bb.937:                              ;   in Loop: Header=BB0_1 Depth=1
	s_add_i32 s8, s0, 0x1d4
	s_mov_b32 s9, s1
	v_mov_b64_e32 v[2:3], s[8:9]
	global_store_dwordx2 v0, v[2:3], s[6:7] sc0 sc1
.LBB0_938:                              ;   Parent Loop BB0_1 Depth=1
                                        ; =>  This Inner Loop Header: Depth=2
	global_load_dwordx2 v[2:3], v0, s[4:5] sc0 sc1
	s_waitcnt vmcnt(0)
	v_cmp_ne_u64_e32 vcc, s[8:9], v[2:3]
	s_cbranch_vccnz .LBB0_938
; %bb.939:                              ;   in Loop: Header=BB0_1 Depth=1
	s_add_i32 s8, s0, 0x1d5
	s_mov_b32 s9, s1
	v_mov_b64_e32 v[2:3], s[8:9]
	global_store_dwordx2 v0, v[2:3], s[6:7] sc0 sc1
.LBB0_940:                              ;   Parent Loop BB0_1 Depth=1
                                        ; =>  This Inner Loop Header: Depth=2
	global_load_dwordx2 v[2:3], v0, s[4:5] sc0 sc1
	s_waitcnt vmcnt(0)
	v_cmp_ne_u64_e32 vcc, s[8:9], v[2:3]
	s_cbranch_vccnz .LBB0_940
; %bb.941:                              ;   in Loop: Header=BB0_1 Depth=1
	s_add_i32 s8, s0, 0x1d6
	s_mov_b32 s9, s1
	v_mov_b64_e32 v[2:3], s[8:9]
	global_store_dwordx2 v0, v[2:3], s[6:7] sc0 sc1
.LBB0_942:                              ;   Parent Loop BB0_1 Depth=1
                                        ; =>  This Inner Loop Header: Depth=2
	global_load_dwordx2 v[2:3], v0, s[4:5] sc0 sc1
	s_waitcnt vmcnt(0)
	v_cmp_ne_u64_e32 vcc, s[8:9], v[2:3]
	s_cbranch_vccnz .LBB0_942
; %bb.943:                              ;   in Loop: Header=BB0_1 Depth=1
	s_add_i32 s8, s0, 0x1d7
	s_mov_b32 s9, s1
	v_mov_b64_e32 v[2:3], s[8:9]
	global_store_dwordx2 v0, v[2:3], s[6:7] sc0 sc1
.LBB0_944:                              ;   Parent Loop BB0_1 Depth=1
                                        ; =>  This Inner Loop Header: Depth=2
	global_load_dwordx2 v[2:3], v0, s[4:5] sc0 sc1
	s_waitcnt vmcnt(0)
	v_cmp_ne_u64_e32 vcc, s[8:9], v[2:3]
	s_cbranch_vccnz .LBB0_944
; %bb.945:                              ;   in Loop: Header=BB0_1 Depth=1
	s_add_i32 s8, s0, 0x1d8
	s_mov_b32 s9, s1
	v_mov_b64_e32 v[2:3], s[8:9]
	global_store_dwordx2 v0, v[2:3], s[6:7] sc0 sc1
.LBB0_946:                              ;   Parent Loop BB0_1 Depth=1
                                        ; =>  This Inner Loop Header: Depth=2
	global_load_dwordx2 v[2:3], v0, s[4:5] sc0 sc1
	s_waitcnt vmcnt(0)
	v_cmp_ne_u64_e32 vcc, s[8:9], v[2:3]
	s_cbranch_vccnz .LBB0_946
; %bb.947:                              ;   in Loop: Header=BB0_1 Depth=1
	s_add_i32 s8, s0, 0x1d9
	s_mov_b32 s9, s1
	v_mov_b64_e32 v[2:3], s[8:9]
	global_store_dwordx2 v0, v[2:3], s[6:7] sc0 sc1
.LBB0_948:                              ;   Parent Loop BB0_1 Depth=1
                                        ; =>  This Inner Loop Header: Depth=2
	global_load_dwordx2 v[2:3], v0, s[4:5] sc0 sc1
	s_waitcnt vmcnt(0)
	v_cmp_ne_u64_e32 vcc, s[8:9], v[2:3]
	s_cbranch_vccnz .LBB0_948
; %bb.949:                              ;   in Loop: Header=BB0_1 Depth=1
	s_add_i32 s8, s0, 0x1da
	s_mov_b32 s9, s1
	v_mov_b64_e32 v[2:3], s[8:9]
	global_store_dwordx2 v0, v[2:3], s[6:7] sc0 sc1
.LBB0_950:                              ;   Parent Loop BB0_1 Depth=1
                                        ; =>  This Inner Loop Header: Depth=2
	global_load_dwordx2 v[2:3], v0, s[4:5] sc0 sc1
	s_waitcnt vmcnt(0)
	v_cmp_ne_u64_e32 vcc, s[8:9], v[2:3]
	s_cbranch_vccnz .LBB0_950
; %bb.951:                              ;   in Loop: Header=BB0_1 Depth=1
	s_add_i32 s8, s0, 0x1db
	s_mov_b32 s9, s1
	v_mov_b64_e32 v[2:3], s[8:9]
	global_store_dwordx2 v0, v[2:3], s[6:7] sc0 sc1
.LBB0_952:                              ;   Parent Loop BB0_1 Depth=1
                                        ; =>  This Inner Loop Header: Depth=2
	global_load_dwordx2 v[2:3], v0, s[4:5] sc0 sc1
	s_waitcnt vmcnt(0)
	v_cmp_ne_u64_e32 vcc, s[8:9], v[2:3]
	s_cbranch_vccnz .LBB0_952
; %bb.953:                              ;   in Loop: Header=BB0_1 Depth=1
	s_add_i32 s8, s0, 0x1dc
	s_mov_b32 s9, s1
	v_mov_b64_e32 v[2:3], s[8:9]
	global_store_dwordx2 v0, v[2:3], s[6:7] sc0 sc1
.LBB0_954:                              ;   Parent Loop BB0_1 Depth=1
                                        ; =>  This Inner Loop Header: Depth=2
	global_load_dwordx2 v[2:3], v0, s[4:5] sc0 sc1
	s_waitcnt vmcnt(0)
	v_cmp_ne_u64_e32 vcc, s[8:9], v[2:3]
	s_cbranch_vccnz .LBB0_954
; %bb.955:                              ;   in Loop: Header=BB0_1 Depth=1
	s_add_i32 s8, s0, 0x1dd
	s_mov_b32 s9, s1
	v_mov_b64_e32 v[2:3], s[8:9]
	global_store_dwordx2 v0, v[2:3], s[6:7] sc0 sc1
.LBB0_956:                              ;   Parent Loop BB0_1 Depth=1
                                        ; =>  This Inner Loop Header: Depth=2
	global_load_dwordx2 v[2:3], v0, s[4:5] sc0 sc1
	s_waitcnt vmcnt(0)
	v_cmp_ne_u64_e32 vcc, s[8:9], v[2:3]
	s_cbranch_vccnz .LBB0_956
; %bb.957:                              ;   in Loop: Header=BB0_1 Depth=1
	s_add_i32 s8, s0, 0x1de
	s_mov_b32 s9, s1
	v_mov_b64_e32 v[2:3], s[8:9]
	global_store_dwordx2 v0, v[2:3], s[6:7] sc0 sc1
.LBB0_958:                              ;   Parent Loop BB0_1 Depth=1
                                        ; =>  This Inner Loop Header: Depth=2
	global_load_dwordx2 v[2:3], v0, s[4:5] sc0 sc1
	s_waitcnt vmcnt(0)
	v_cmp_ne_u64_e32 vcc, s[8:9], v[2:3]
	s_cbranch_vccnz .LBB0_958
; %bb.959:                              ;   in Loop: Header=BB0_1 Depth=1
	s_add_i32 s8, s0, 0x1df
	s_mov_b32 s9, s1
	v_mov_b64_e32 v[2:3], s[8:9]
	global_store_dwordx2 v0, v[2:3], s[6:7] sc0 sc1
.LBB0_960:                              ;   Parent Loop BB0_1 Depth=1
                                        ; =>  This Inner Loop Header: Depth=2
	global_load_dwordx2 v[2:3], v0, s[4:5] sc0 sc1
	s_waitcnt vmcnt(0)
	v_cmp_ne_u64_e32 vcc, s[8:9], v[2:3]
	s_cbranch_vccnz .LBB0_960
; %bb.961:                              ;   in Loop: Header=BB0_1 Depth=1
	s_add_i32 s8, s0, 0x1e0
	s_mov_b32 s9, s1
	v_mov_b64_e32 v[2:3], s[8:9]
	global_store_dwordx2 v0, v[2:3], s[6:7] sc0 sc1
.LBB0_962:                              ;   Parent Loop BB0_1 Depth=1
                                        ; =>  This Inner Loop Header: Depth=2
	global_load_dwordx2 v[2:3], v0, s[4:5] sc0 sc1
	s_waitcnt vmcnt(0)
	v_cmp_ne_u64_e32 vcc, s[8:9], v[2:3]
	s_cbranch_vccnz .LBB0_962
; %bb.963:                              ;   in Loop: Header=BB0_1 Depth=1
	s_add_i32 s8, s0, 0x1e1
	s_mov_b32 s9, s1
	v_mov_b64_e32 v[2:3], s[8:9]
	global_store_dwordx2 v0, v[2:3], s[6:7] sc0 sc1
.LBB0_964:                              ;   Parent Loop BB0_1 Depth=1
                                        ; =>  This Inner Loop Header: Depth=2
	global_load_dwordx2 v[2:3], v0, s[4:5] sc0 sc1
	s_waitcnt vmcnt(0)
	v_cmp_ne_u64_e32 vcc, s[8:9], v[2:3]
	s_cbranch_vccnz .LBB0_964
; %bb.965:                              ;   in Loop: Header=BB0_1 Depth=1
	s_add_i32 s8, s0, 0x1e2
	s_mov_b32 s9, s1
	v_mov_b64_e32 v[2:3], s[8:9]
	global_store_dwordx2 v0, v[2:3], s[6:7] sc0 sc1
.LBB0_966:                              ;   Parent Loop BB0_1 Depth=1
                                        ; =>  This Inner Loop Header: Depth=2
	global_load_dwordx2 v[2:3], v0, s[4:5] sc0 sc1
	s_waitcnt vmcnt(0)
	v_cmp_ne_u64_e32 vcc, s[8:9], v[2:3]
	s_cbranch_vccnz .LBB0_966
; %bb.967:                              ;   in Loop: Header=BB0_1 Depth=1
	s_add_i32 s8, s0, 0x1e3
	s_mov_b32 s9, s1
	v_mov_b64_e32 v[2:3], s[8:9]
	global_store_dwordx2 v0, v[2:3], s[6:7] sc0 sc1
.LBB0_968:                              ;   Parent Loop BB0_1 Depth=1
                                        ; =>  This Inner Loop Header: Depth=2
	global_load_dwordx2 v[2:3], v0, s[4:5] sc0 sc1
	s_waitcnt vmcnt(0)
	v_cmp_ne_u64_e32 vcc, s[8:9], v[2:3]
	s_cbranch_vccnz .LBB0_968
; %bb.969:                              ;   in Loop: Header=BB0_1 Depth=1
	s_add_i32 s8, s0, 0x1e4
	s_mov_b32 s9, s1
	v_mov_b64_e32 v[2:3], s[8:9]
	global_store_dwordx2 v0, v[2:3], s[6:7] sc0 sc1
.LBB0_970:                              ;   Parent Loop BB0_1 Depth=1
                                        ; =>  This Inner Loop Header: Depth=2
	global_load_dwordx2 v[2:3], v0, s[4:5] sc0 sc1
	s_waitcnt vmcnt(0)
	v_cmp_ne_u64_e32 vcc, s[8:9], v[2:3]
	s_cbranch_vccnz .LBB0_970
; %bb.971:                              ;   in Loop: Header=BB0_1 Depth=1
	s_add_i32 s8, s0, 0x1e5
	s_mov_b32 s9, s1
	v_mov_b64_e32 v[2:3], s[8:9]
	global_store_dwordx2 v0, v[2:3], s[6:7] sc0 sc1
.LBB0_972:                              ;   Parent Loop BB0_1 Depth=1
                                        ; =>  This Inner Loop Header: Depth=2
	global_load_dwordx2 v[2:3], v0, s[4:5] sc0 sc1
	s_waitcnt vmcnt(0)
	v_cmp_ne_u64_e32 vcc, s[8:9], v[2:3]
	s_cbranch_vccnz .LBB0_972
; %bb.973:                              ;   in Loop: Header=BB0_1 Depth=1
	s_add_i32 s8, s0, 0x1e6
	s_mov_b32 s9, s1
	v_mov_b64_e32 v[2:3], s[8:9]
	global_store_dwordx2 v0, v[2:3], s[6:7] sc0 sc1
.LBB0_974:                              ;   Parent Loop BB0_1 Depth=1
                                        ; =>  This Inner Loop Header: Depth=2
	global_load_dwordx2 v[2:3], v0, s[4:5] sc0 sc1
	s_waitcnt vmcnt(0)
	v_cmp_ne_u64_e32 vcc, s[8:9], v[2:3]
	s_cbranch_vccnz .LBB0_974
; %bb.975:                              ;   in Loop: Header=BB0_1 Depth=1
	s_add_i32 s8, s0, 0x1e7
	s_mov_b32 s9, s1
	v_mov_b64_e32 v[2:3], s[8:9]
	global_store_dwordx2 v0, v[2:3], s[6:7] sc0 sc1
.LBB0_976:                              ;   Parent Loop BB0_1 Depth=1
                                        ; =>  This Inner Loop Header: Depth=2
	global_load_dwordx2 v[2:3], v0, s[4:5] sc0 sc1
	s_waitcnt vmcnt(0)
	v_cmp_ne_u64_e32 vcc, s[8:9], v[2:3]
	s_cbranch_vccnz .LBB0_976
; %bb.977:                              ;   in Loop: Header=BB0_1 Depth=1
	s_add_i32 s8, s0, 0x1e8
	s_mov_b32 s9, s1
	v_mov_b64_e32 v[2:3], s[8:9]
	global_store_dwordx2 v0, v[2:3], s[6:7] sc0 sc1
.LBB0_978:                              ;   Parent Loop BB0_1 Depth=1
                                        ; =>  This Inner Loop Header: Depth=2
	global_load_dwordx2 v[2:3], v0, s[4:5] sc0 sc1
	s_waitcnt vmcnt(0)
	v_cmp_ne_u64_e32 vcc, s[8:9], v[2:3]
	s_cbranch_vccnz .LBB0_978
; %bb.979:                              ;   in Loop: Header=BB0_1 Depth=1
	s_add_i32 s8, s0, 0x1e9
	s_mov_b32 s9, s1
	v_mov_b64_e32 v[2:3], s[8:9]
	global_store_dwordx2 v0, v[2:3], s[6:7] sc0 sc1
.LBB0_980:                              ;   Parent Loop BB0_1 Depth=1
                                        ; =>  This Inner Loop Header: Depth=2
	global_load_dwordx2 v[2:3], v0, s[4:5] sc0 sc1
	s_waitcnt vmcnt(0)
	v_cmp_ne_u64_e32 vcc, s[8:9], v[2:3]
	s_cbranch_vccnz .LBB0_980
; %bb.981:                              ;   in Loop: Header=BB0_1 Depth=1
	s_add_i32 s8, s0, 0x1ea
	s_mov_b32 s9, s1
	v_mov_b64_e32 v[2:3], s[8:9]
	global_store_dwordx2 v0, v[2:3], s[6:7] sc0 sc1
.LBB0_982:                              ;   Parent Loop BB0_1 Depth=1
                                        ; =>  This Inner Loop Header: Depth=2
	global_load_dwordx2 v[2:3], v0, s[4:5] sc0 sc1
	s_waitcnt vmcnt(0)
	v_cmp_ne_u64_e32 vcc, s[8:9], v[2:3]
	s_cbranch_vccnz .LBB0_982
; %bb.983:                              ;   in Loop: Header=BB0_1 Depth=1
	s_add_i32 s8, s0, 0x1eb
	s_mov_b32 s9, s1
	v_mov_b64_e32 v[2:3], s[8:9]
	global_store_dwordx2 v0, v[2:3], s[6:7] sc0 sc1
.LBB0_984:                              ;   Parent Loop BB0_1 Depth=1
                                        ; =>  This Inner Loop Header: Depth=2
	global_load_dwordx2 v[2:3], v0, s[4:5] sc0 sc1
	s_waitcnt vmcnt(0)
	v_cmp_ne_u64_e32 vcc, s[8:9], v[2:3]
	s_cbranch_vccnz .LBB0_984
; %bb.985:                              ;   in Loop: Header=BB0_1 Depth=1
	s_add_i32 s8, s0, 0x1ec
	s_mov_b32 s9, s1
	v_mov_b64_e32 v[2:3], s[8:9]
	global_store_dwordx2 v0, v[2:3], s[6:7] sc0 sc1
.LBB0_986:                              ;   Parent Loop BB0_1 Depth=1
                                        ; =>  This Inner Loop Header: Depth=2
	global_load_dwordx2 v[2:3], v0, s[4:5] sc0 sc1
	s_waitcnt vmcnt(0)
	v_cmp_ne_u64_e32 vcc, s[8:9], v[2:3]
	s_cbranch_vccnz .LBB0_986
; %bb.987:                              ;   in Loop: Header=BB0_1 Depth=1
	s_add_i32 s8, s0, 0x1ed
	s_mov_b32 s9, s1
	v_mov_b64_e32 v[2:3], s[8:9]
	global_store_dwordx2 v0, v[2:3], s[6:7] sc0 sc1
.LBB0_988:                              ;   Parent Loop BB0_1 Depth=1
                                        ; =>  This Inner Loop Header: Depth=2
	global_load_dwordx2 v[2:3], v0, s[4:5] sc0 sc1
	s_waitcnt vmcnt(0)
	v_cmp_ne_u64_e32 vcc, s[8:9], v[2:3]
	s_cbranch_vccnz .LBB0_988
; %bb.989:                              ;   in Loop: Header=BB0_1 Depth=1
	s_add_i32 s8, s0, 0x1ee
	s_mov_b32 s9, s1
	v_mov_b64_e32 v[2:3], s[8:9]
	global_store_dwordx2 v0, v[2:3], s[6:7] sc0 sc1
.LBB0_990:                              ;   Parent Loop BB0_1 Depth=1
                                        ; =>  This Inner Loop Header: Depth=2
	global_load_dwordx2 v[2:3], v0, s[4:5] sc0 sc1
	s_waitcnt vmcnt(0)
	v_cmp_ne_u64_e32 vcc, s[8:9], v[2:3]
	s_cbranch_vccnz .LBB0_990
; %bb.991:                              ;   in Loop: Header=BB0_1 Depth=1
	s_add_i32 s8, s0, 0x1ef
	s_mov_b32 s9, s1
	v_mov_b64_e32 v[2:3], s[8:9]
	global_store_dwordx2 v0, v[2:3], s[6:7] sc0 sc1
.LBB0_992:                              ;   Parent Loop BB0_1 Depth=1
                                        ; =>  This Inner Loop Header: Depth=2
	global_load_dwordx2 v[2:3], v0, s[4:5] sc0 sc1
	s_waitcnt vmcnt(0)
	v_cmp_ne_u64_e32 vcc, s[8:9], v[2:3]
	s_cbranch_vccnz .LBB0_992
; %bb.993:                              ;   in Loop: Header=BB0_1 Depth=1
	s_add_i32 s8, s0, 0x1f0
	s_mov_b32 s9, s1
	v_mov_b64_e32 v[2:3], s[8:9]
	global_store_dwordx2 v0, v[2:3], s[6:7] sc0 sc1
.LBB0_994:                              ;   Parent Loop BB0_1 Depth=1
                                        ; =>  This Inner Loop Header: Depth=2
	global_load_dwordx2 v[2:3], v0, s[4:5] sc0 sc1
	s_waitcnt vmcnt(0)
	v_cmp_ne_u64_e32 vcc, s[8:9], v[2:3]
	s_cbranch_vccnz .LBB0_994
; %bb.995:                              ;   in Loop: Header=BB0_1 Depth=1
	s_add_i32 s8, s0, 0x1f1
	s_mov_b32 s9, s1
	v_mov_b64_e32 v[2:3], s[8:9]
	global_store_dwordx2 v0, v[2:3], s[6:7] sc0 sc1
.LBB0_996:                              ;   Parent Loop BB0_1 Depth=1
                                        ; =>  This Inner Loop Header: Depth=2
	global_load_dwordx2 v[2:3], v0, s[4:5] sc0 sc1
	s_waitcnt vmcnt(0)
	v_cmp_ne_u64_e32 vcc, s[8:9], v[2:3]
	s_cbranch_vccnz .LBB0_996
; %bb.997:                              ;   in Loop: Header=BB0_1 Depth=1
	s_add_i32 s8, s0, 0x1f2
	s_mov_b32 s9, s1
	v_mov_b64_e32 v[2:3], s[8:9]
	global_store_dwordx2 v0, v[2:3], s[6:7] sc0 sc1
.LBB0_998:                              ;   Parent Loop BB0_1 Depth=1
                                        ; =>  This Inner Loop Header: Depth=2
	global_load_dwordx2 v[2:3], v0, s[4:5] sc0 sc1
	s_waitcnt vmcnt(0)
	v_cmp_ne_u64_e32 vcc, s[8:9], v[2:3]
	s_cbranch_vccnz .LBB0_998
; %bb.999:                              ;   in Loop: Header=BB0_1 Depth=1
	s_add_i32 s8, s0, 0x1f3
	s_mov_b32 s9, s1
	v_mov_b64_e32 v[2:3], s[8:9]
	global_store_dwordx2 v0, v[2:3], s[6:7] sc0 sc1
.LBB0_1000:                             ;   Parent Loop BB0_1 Depth=1
                                        ; =>  This Inner Loop Header: Depth=2
	global_load_dwordx2 v[2:3], v0, s[4:5] sc0 sc1
	s_waitcnt vmcnt(0)
	v_cmp_ne_u64_e32 vcc, s[8:9], v[2:3]
	s_cbranch_vccnz .LBB0_1000
; %bb.1001:                             ;   in Loop: Header=BB0_1 Depth=1
	s_add_i32 s8, s0, 0x1f4
	s_mov_b32 s9, s1
	v_mov_b64_e32 v[2:3], s[8:9]
	global_store_dwordx2 v0, v[2:3], s[6:7] sc0 sc1
.LBB0_1002:                             ;   Parent Loop BB0_1 Depth=1
                                        ; =>  This Inner Loop Header: Depth=2
	global_load_dwordx2 v[2:3], v0, s[4:5] sc0 sc1
	s_waitcnt vmcnt(0)
	v_cmp_ne_u64_e32 vcc, s[8:9], v[2:3]
	s_cbranch_vccnz .LBB0_1002
; %bb.1003:                             ;   in Loop: Header=BB0_1 Depth=1
	s_add_i32 s8, s0, 0x1f5
	s_mov_b32 s9, s1
	v_mov_b64_e32 v[2:3], s[8:9]
	;; [unrolled: 11-line block ×500, first 2 shown]
	global_store_dwordx2 v0, v[2:3], s[6:7] sc0 sc1
.LBB0_2000:                             ;   Parent Loop BB0_1 Depth=1
                                        ; =>  This Inner Loop Header: Depth=2
	global_load_dwordx2 v[2:3], v0, s[4:5] sc0 sc1
	s_waitcnt vmcnt(0)
	v_cmp_ne_u64_e32 vcc, s[8:9], v[2:3]
	s_cbranch_vccnz .LBB0_2000
; %bb.2001:                             ;   in Loop: Header=BB0_1 Depth=1
	s_addk_i32 s0, 0x3e8
	s_cmpk_eq_i32 s0, 0x7d1
	s_cbranch_scc0 .LBB0_1
; %bb.2002:
	s_memrealtime s[0:1]
	s_movk_i32 s8, 0x7d1
	s_mov_b32 s9, 0
	v_mov_b32_e32 v0, 0
.LBB0_2003:                             ; =>This Loop Header: Depth=1
                                        ;     Child Loop BB0_2004 Depth 2
                                        ;     Child Loop BB0_2006 Depth 2
	;; [unrolled: 1-line block ×1250, first 2 shown]
	v_mov_b64_e32 v[2:3], s[8:9]
	global_store_dwordx2 v0, v[2:3], s[6:7] sc0 sc1
.LBB0_2004:                             ;   Parent Loop BB0_2003 Depth=1
                                        ; =>  This Inner Loop Header: Depth=2
	global_load_dwordx2 v[2:3], v0, s[4:5] sc0 sc1
	s_waitcnt vmcnt(0)
	v_cmp_ne_u64_e32 vcc, s[8:9], v[2:3]
	s_cbranch_vccnz .LBB0_2004
; %bb.2005:                             ;   in Loop: Header=BB0_2003 Depth=1
	s_add_i32 s10, s8, 1
	s_mov_b32 s11, s9
	v_mov_b64_e32 v[2:3], s[10:11]
	global_store_dwordx2 v0, v[2:3], s[6:7] sc0 sc1
.LBB0_2006:                             ;   Parent Loop BB0_2003 Depth=1
                                        ; =>  This Inner Loop Header: Depth=2
	global_load_dwordx2 v[2:3], v0, s[4:5] sc0 sc1
	s_waitcnt vmcnt(0)
	v_cmp_ne_u64_e32 vcc, s[10:11], v[2:3]
	s_cbranch_vccnz .LBB0_2006
; %bb.2007:                             ;   in Loop: Header=BB0_2003 Depth=1
	s_add_i32 s10, s8, 2
	s_mov_b32 s11, s9
	;; [unrolled: 11-line block ×1249, first 2 shown]
	v_mov_b64_e32 v[2:3], s[10:11]
	global_store_dwordx2 v0, v[2:3], s[6:7] sc0 sc1
.LBB0_4502:                             ;   Parent Loop BB0_2003 Depth=1
                                        ; =>  This Inner Loop Header: Depth=2
	global_load_dwordx2 v[2:3], v0, s[4:5] sc0 sc1
	s_waitcnt vmcnt(0)
	v_cmp_ne_u64_e32 vcc, s[10:11], v[2:3]
	s_cbranch_vccnz .LBB0_4502
; %bb.4503:                             ;   in Loop: Header=BB0_2003 Depth=1
	s_addk_i32 s8, 0x4e2
	s_cmpk_eq_i32 s8, 0x2ee1
	s_cbranch_scc0 .LBB0_2003
; %bb.4504:
	s_memrealtime s[4:5]
	v_mov_b32_e32 v0, 0
	s_waitcnt lgkmcnt(0)
	s_sub_u32 s0, s4, s0
	s_subb_u32 s1, s5, s1
	v_mov_b64_e32 v[2:3], s[0:1]
	global_store_dwordx2 v0, v[2:3], s[2:3]
	s_endpgm
	.section	.rodata,"a",@progbits
	.p2align	6, 0x0
	.amdhsa_kernel _Z10PingKernelPmS_S_
		.amdhsa_group_segment_fixed_size 0
		.amdhsa_private_segment_fixed_size 0
		.amdhsa_kernarg_size 24
		.amdhsa_user_sgpr_count 2
		.amdhsa_user_sgpr_dispatch_ptr 0
		.amdhsa_user_sgpr_queue_ptr 0
		.amdhsa_user_sgpr_kernarg_segment_ptr 1
		.amdhsa_user_sgpr_dispatch_id 0
		.amdhsa_user_sgpr_kernarg_preload_length 0
		.amdhsa_user_sgpr_kernarg_preload_offset 0
		.amdhsa_user_sgpr_private_segment_size 0
		.amdhsa_uses_dynamic_stack 0
		.amdhsa_enable_private_segment 0
		.amdhsa_system_sgpr_workgroup_id_x 1
		.amdhsa_system_sgpr_workgroup_id_y 0
		.amdhsa_system_sgpr_workgroup_id_z 0
		.amdhsa_system_sgpr_workgroup_info 0
		.amdhsa_system_vgpr_workitem_id 0
		.amdhsa_next_free_vgpr 4
		.amdhsa_next_free_sgpr 12
		.amdhsa_accum_offset 4
		.amdhsa_reserve_vcc 1
		.amdhsa_float_round_mode_32 0
		.amdhsa_float_round_mode_16_64 0
		.amdhsa_float_denorm_mode_32 3
		.amdhsa_float_denorm_mode_16_64 3
		.amdhsa_dx10_clamp 1
		.amdhsa_ieee_mode 1
		.amdhsa_fp16_overflow 0
		.amdhsa_tg_split 0
		.amdhsa_exception_fp_ieee_invalid_op 0
		.amdhsa_exception_fp_denorm_src 0
		.amdhsa_exception_fp_ieee_div_zero 0
		.amdhsa_exception_fp_ieee_overflow 0
		.amdhsa_exception_fp_ieee_underflow 0
		.amdhsa_exception_fp_ieee_inexact 0
		.amdhsa_exception_int_div_zero 0
	.end_amdhsa_kernel
	.text
.Lfunc_end0:
	.size	_Z10PingKernelPmS_S_, .Lfunc_end0-_Z10PingKernelPmS_S_
                                        ; -- End function
	.set _Z10PingKernelPmS_S_.num_vgpr, 4
	.set _Z10PingKernelPmS_S_.num_agpr, 0
	.set _Z10PingKernelPmS_S_.numbered_sgpr, 12
	.set _Z10PingKernelPmS_S_.num_named_barrier, 0
	.set _Z10PingKernelPmS_S_.private_seg_size, 0
	.set _Z10PingKernelPmS_S_.uses_vcc, 1
	.set _Z10PingKernelPmS_S_.uses_flat_scratch, 0
	.set _Z10PingKernelPmS_S_.has_dyn_sized_stack, 0
	.set _Z10PingKernelPmS_S_.has_recursion, 0
	.set _Z10PingKernelPmS_S_.has_indirect_call, 0
	.section	.AMDGPU.csdata,"",@progbits
; Kernel info:
; codeLenInByte = 98580
; TotalNumSgprs: 18
; NumVgprs: 4
; NumAgprs: 0
; TotalNumVgprs: 4
; ScratchSize: 0
; MemoryBound: 1
; FloatMode: 240
; IeeeMode: 1
; LDSByteSize: 0 bytes/workgroup (compile time only)
; SGPRBlocks: 2
; VGPRBlocks: 0
; NumSGPRsForWavesPerEU: 18
; NumVGPRsForWavesPerEU: 4
; AccumOffset: 4
; Occupancy: 8
; WaveLimiterHint : 0
; COMPUTE_PGM_RSRC2:SCRATCH_EN: 0
; COMPUTE_PGM_RSRC2:USER_SGPR: 2
; COMPUTE_PGM_RSRC2:TRAP_HANDLER: 0
; COMPUTE_PGM_RSRC2:TGID_X_EN: 1
; COMPUTE_PGM_RSRC2:TGID_Y_EN: 0
; COMPUTE_PGM_RSRC2:TGID_Z_EN: 0
; COMPUTE_PGM_RSRC2:TIDIG_COMP_CNT: 0
; COMPUTE_PGM_RSRC3_GFX90A:ACCUM_OFFSET: 0
; COMPUTE_PGM_RSRC3_GFX90A:TG_SPLIT: 0
	.text
	.protected	_Z10PongKernelPmS_S_    ; -- Begin function _Z10PongKernelPmS_S_
	.globl	_Z10PongKernelPmS_S_
	.p2align	8
	.type	_Z10PongKernelPmS_S_,@function
_Z10PongKernelPmS_S_:                   ; @_Z10PongKernelPmS_S_
; %bb.0:
	s_load_dwordx4 s[4:7], s[0:1], 0x0
	s_load_dwordx2 s[2:3], s[0:1], 0x10
	s_mov_b32 s0, 1
	s_mov_b32 s1, 0
	v_mov_b32_e32 v0, 0
.LBB1_1:                                ; =>This Loop Header: Depth=1
                                        ;     Child Loop BB1_3 Depth 2
                                        ;     Child Loop BB1_5 Depth 2
	;; [unrolled: 1-line block ×999, first 2 shown]
	s_waitcnt lgkmcnt(0)
	global_load_dwordx2 v[2:3], v0, s[4:5] sc0 sc1
	s_waitcnt vmcnt(0)
	v_cmp_ne_u64_e32 vcc, s[0:1], v[2:3]
	s_cbranch_vccnz .LBB1_1
; %bb.2:                                ;   in Loop: Header=BB1_1 Depth=1
	v_mov_b64_e32 v[2:3], s[0:1]
	s_add_i32 s8, s0, 1
	s_mov_b32 s9, s1
	global_store_dwordx2 v0, v[2:3], s[6:7] sc0 sc1
.LBB1_3:                                ;   Parent Loop BB1_1 Depth=1
                                        ; =>  This Inner Loop Header: Depth=2
	global_load_dwordx2 v[2:3], v0, s[4:5] sc0 sc1
	s_waitcnt vmcnt(0)
	v_cmp_ne_u64_e32 vcc, s[8:9], v[2:3]
	s_cbranch_vccnz .LBB1_3
; %bb.4:                                ;   in Loop: Header=BB1_1 Depth=1
	v_mov_b64_e32 v[2:3], s[8:9]
	s_add_i32 s8, s0, 2
	s_mov_b32 s9, s1
	global_store_dwordx2 v0, v[2:3], s[6:7] sc0 sc1
.LBB1_5:                                ;   Parent Loop BB1_1 Depth=1
                                        ; =>  This Inner Loop Header: Depth=2
	global_load_dwordx2 v[2:3], v0, s[4:5] sc0 sc1
	s_waitcnt vmcnt(0)
	v_cmp_ne_u64_e32 vcc, s[8:9], v[2:3]
	s_cbranch_vccnz .LBB1_5
	;; [unrolled: 11-line block ×4, first 2 shown]
; %bb.10:                               ;   in Loop: Header=BB1_1 Depth=1
	v_mov_b64_e32 v[2:3], s[8:9]
	s_add_i32 s8, s0, 5
	s_mov_b32 s9, s1
	global_store_dwordx2 v0, v[2:3], s[6:7] sc0 sc1
.LBB1_11:                               ;   Parent Loop BB1_1 Depth=1
                                        ; =>  This Inner Loop Header: Depth=2
	global_load_dwordx2 v[2:3], v0, s[4:5] sc0 sc1
	s_waitcnt vmcnt(0)
	v_cmp_ne_u64_e32 vcc, s[8:9], v[2:3]
	s_cbranch_vccnz .LBB1_11
; %bb.12:                               ;   in Loop: Header=BB1_1 Depth=1
	v_mov_b64_e32 v[2:3], s[8:9]
	s_add_i32 s8, s0, 6
	s_mov_b32 s9, s1
	global_store_dwordx2 v0, v[2:3], s[6:7] sc0 sc1
.LBB1_13:                               ;   Parent Loop BB1_1 Depth=1
                                        ; =>  This Inner Loop Header: Depth=2
	global_load_dwordx2 v[2:3], v0, s[4:5] sc0 sc1
	s_waitcnt vmcnt(0)
	v_cmp_ne_u64_e32 vcc, s[8:9], v[2:3]
	s_cbranch_vccnz .LBB1_13
	;; [unrolled: 11-line block ×45, first 2 shown]
; %bb.100:                              ;   in Loop: Header=BB1_1 Depth=1
	v_mov_b64_e32 v[2:3], s[8:9]
	s_add_i32 s8, s0, 50
	s_mov_b32 s9, s1
	global_store_dwordx2 v0, v[2:3], s[6:7] sc0 sc1
.LBB1_101:                              ;   Parent Loop BB1_1 Depth=1
                                        ; =>  This Inner Loop Header: Depth=2
	global_load_dwordx2 v[2:3], v0, s[4:5] sc0 sc1
	s_waitcnt vmcnt(0)
	v_cmp_ne_u64_e32 vcc, s[8:9], v[2:3]
	s_cbranch_vccnz .LBB1_101
; %bb.102:                              ;   in Loop: Header=BB1_1 Depth=1
	v_mov_b64_e32 v[2:3], s[8:9]
	s_add_i32 s8, s0, 51
	s_mov_b32 s9, s1
	global_store_dwordx2 v0, v[2:3], s[6:7] sc0 sc1
.LBB1_103:                              ;   Parent Loop BB1_1 Depth=1
                                        ; =>  This Inner Loop Header: Depth=2
	global_load_dwordx2 v[2:3], v0, s[4:5] sc0 sc1
	s_waitcnt vmcnt(0)
	v_cmp_ne_u64_e32 vcc, s[8:9], v[2:3]
	s_cbranch_vccnz .LBB1_103
	;; [unrolled: 11-line block ×450, first 2 shown]
; %bb.1000:                             ;   in Loop: Header=BB1_1 Depth=1
	v_mov_b64_e32 v[2:3], s[8:9]
	s_add_i32 s8, s0, 0x1f4
	s_mov_b32 s9, s1
	global_store_dwordx2 v0, v[2:3], s[6:7] sc0 sc1
.LBB1_1001:                             ;   Parent Loop BB1_1 Depth=1
                                        ; =>  This Inner Loop Header: Depth=2
	global_load_dwordx2 v[2:3], v0, s[4:5] sc0 sc1
	s_waitcnt vmcnt(0)
	v_cmp_ne_u64_e32 vcc, s[8:9], v[2:3]
	s_cbranch_vccnz .LBB1_1001
; %bb.1002:                             ;   in Loop: Header=BB1_1 Depth=1
	v_mov_b64_e32 v[2:3], s[8:9]
	s_add_i32 s8, s0, 0x1f5
	s_mov_b32 s9, s1
	global_store_dwordx2 v0, v[2:3], s[6:7] sc0 sc1
.LBB1_1003:                             ;   Parent Loop BB1_1 Depth=1
                                        ; =>  This Inner Loop Header: Depth=2
	global_load_dwordx2 v[2:3], v0, s[4:5] sc0 sc1
	s_waitcnt vmcnt(0)
	v_cmp_ne_u64_e32 vcc, s[8:9], v[2:3]
	s_cbranch_vccnz .LBB1_1003
	;; [unrolled: 11-line block ×500, first 2 shown]
; %bb.2000:                             ;   in Loop: Header=BB1_1 Depth=1
	s_addk_i32 s0, 0x3e8
	v_mov_b64_e32 v[2:3], s[8:9]
	s_cmpk_eq_i32 s0, 0x7d1
	global_store_dwordx2 v0, v[2:3], s[6:7] sc0 sc1
	s_cbranch_scc0 .LBB1_1
; %bb.2001:
	s_memrealtime s[0:1]
	s_movk_i32 s8, 0x7d1
	s_mov_b32 s9, 0
	v_mov_b32_e32 v0, 0
.LBB1_2002:                             ; =>This Loop Header: Depth=1
                                        ;     Child Loop BB1_2004 Depth 2
                                        ;     Child Loop BB1_2006 Depth 2
	;; [unrolled: 1-line block ×1249, first 2 shown]
	global_load_dwordx2 v[2:3], v0, s[4:5] sc0 sc1
	s_waitcnt vmcnt(0)
	v_cmp_ne_u64_e32 vcc, s[8:9], v[2:3]
	s_cbranch_vccnz .LBB1_2002
; %bb.2003:                             ;   in Loop: Header=BB1_2002 Depth=1
	v_mov_b64_e32 v[2:3], s[8:9]
	s_add_i32 s10, s8, 1
	s_mov_b32 s11, s9
	global_store_dwordx2 v0, v[2:3], s[6:7] sc0 sc1
.LBB1_2004:                             ;   Parent Loop BB1_2002 Depth=1
                                        ; =>  This Inner Loop Header: Depth=2
	global_load_dwordx2 v[2:3], v0, s[4:5] sc0 sc1
	s_waitcnt vmcnt(0)
	v_cmp_ne_u64_e32 vcc, s[10:11], v[2:3]
	s_cbranch_vccnz .LBB1_2004
; %bb.2005:                             ;   in Loop: Header=BB1_2002 Depth=1
	v_mov_b64_e32 v[2:3], s[10:11]
	s_add_i32 s10, s8, 2
	s_mov_b32 s11, s9
	global_store_dwordx2 v0, v[2:3], s[6:7] sc0 sc1
.LBB1_2006:                             ;   Parent Loop BB1_2002 Depth=1
                                        ; =>  This Inner Loop Header: Depth=2
	global_load_dwordx2 v[2:3], v0, s[4:5] sc0 sc1
	s_waitcnt vmcnt(0)
	v_cmp_ne_u64_e32 vcc, s[10:11], v[2:3]
	s_cbranch_vccnz .LBB1_2006
	;; [unrolled: 11-line block ×1249, first 2 shown]
; %bb.4501:                             ;   in Loop: Header=BB1_2002 Depth=1
	s_addk_i32 s8, 0x4e2
	v_mov_b64_e32 v[2:3], s[10:11]
	s_cmpk_eq_i32 s8, 0x2ee1
	global_store_dwordx2 v0, v[2:3], s[6:7] sc0 sc1
	s_cbranch_scc0 .LBB1_2002
; %bb.4502:
	s_memrealtime s[4:5]
	v_mov_b32_e32 v0, 0
	s_waitcnt lgkmcnt(0)
	s_sub_u32 s0, s4, s0
	s_subb_u32 s1, s5, s1
	v_mov_b64_e32 v[2:3], s[0:1]
	global_store_dwordx2 v0, v[2:3], s[2:3]
	s_endpgm
	.section	.rodata,"a",@progbits
	.p2align	6, 0x0
	.amdhsa_kernel _Z10PongKernelPmS_S_
		.amdhsa_group_segment_fixed_size 0
		.amdhsa_private_segment_fixed_size 0
		.amdhsa_kernarg_size 24
		.amdhsa_user_sgpr_count 2
		.amdhsa_user_sgpr_dispatch_ptr 0
		.amdhsa_user_sgpr_queue_ptr 0
		.amdhsa_user_sgpr_kernarg_segment_ptr 1
		.amdhsa_user_sgpr_dispatch_id 0
		.amdhsa_user_sgpr_kernarg_preload_length 0
		.amdhsa_user_sgpr_kernarg_preload_offset 0
		.amdhsa_user_sgpr_private_segment_size 0
		.amdhsa_uses_dynamic_stack 0
		.amdhsa_enable_private_segment 0
		.amdhsa_system_sgpr_workgroup_id_x 1
		.amdhsa_system_sgpr_workgroup_id_y 0
		.amdhsa_system_sgpr_workgroup_id_z 0
		.amdhsa_system_sgpr_workgroup_info 0
		.amdhsa_system_vgpr_workitem_id 0
		.amdhsa_next_free_vgpr 4
		.amdhsa_next_free_sgpr 12
		.amdhsa_accum_offset 4
		.amdhsa_reserve_vcc 1
		.amdhsa_float_round_mode_32 0
		.amdhsa_float_round_mode_16_64 0
		.amdhsa_float_denorm_mode_32 3
		.amdhsa_float_denorm_mode_16_64 3
		.amdhsa_dx10_clamp 1
		.amdhsa_ieee_mode 1
		.amdhsa_fp16_overflow 0
		.amdhsa_tg_split 0
		.amdhsa_exception_fp_ieee_invalid_op 0
		.amdhsa_exception_fp_denorm_src 0
		.amdhsa_exception_fp_ieee_div_zero 0
		.amdhsa_exception_fp_ieee_overflow 0
		.amdhsa_exception_fp_ieee_underflow 0
		.amdhsa_exception_fp_ieee_inexact 0
		.amdhsa_exception_int_div_zero 0
	.end_amdhsa_kernel
	.text
.Lfunc_end1:
	.size	_Z10PongKernelPmS_S_, .Lfunc_end1-_Z10PongKernelPmS_S_
                                        ; -- End function
	.set _Z10PongKernelPmS_S_.num_vgpr, 4
	.set _Z10PongKernelPmS_S_.num_agpr, 0
	.set _Z10PongKernelPmS_S_.numbered_sgpr, 12
	.set _Z10PongKernelPmS_S_.num_named_barrier, 0
	.set _Z10PongKernelPmS_S_.private_seg_size, 0
	.set _Z10PongKernelPmS_S_.uses_vcc, 1
	.set _Z10PongKernelPmS_S_.uses_flat_scratch, 0
	.set _Z10PongKernelPmS_S_.has_dyn_sized_stack, 0
	.set _Z10PongKernelPmS_S_.has_recursion, 0
	.set _Z10PongKernelPmS_S_.has_indirect_call, 0
	.section	.AMDGPU.csdata,"",@progbits
; Kernel info:
; codeLenInByte = 98580
; TotalNumSgprs: 18
; NumVgprs: 4
; NumAgprs: 0
; TotalNumVgprs: 4
; ScratchSize: 0
; MemoryBound: 1
; FloatMode: 240
; IeeeMode: 1
; LDSByteSize: 0 bytes/workgroup (compile time only)
; SGPRBlocks: 2
; VGPRBlocks: 0
; NumSGPRsForWavesPerEU: 18
; NumVGPRsForWavesPerEU: 4
; AccumOffset: 4
; Occupancy: 8
; WaveLimiterHint : 0
; COMPUTE_PGM_RSRC2:SCRATCH_EN: 0
; COMPUTE_PGM_RSRC2:USER_SGPR: 2
; COMPUTE_PGM_RSRC2:TRAP_HANDLER: 0
; COMPUTE_PGM_RSRC2:TGID_X_EN: 1
; COMPUTE_PGM_RSRC2:TGID_Y_EN: 0
; COMPUTE_PGM_RSRC2:TGID_Z_EN: 0
; COMPUTE_PGM_RSRC2:TIDIG_COMP_CNT: 0
; COMPUTE_PGM_RSRC3_GFX90A:ACCUM_OFFSET: 0
; COMPUTE_PGM_RSRC3_GFX90A:TG_SPLIT: 0
	.text
	.p2alignl 6, 3212836864
	.fill 256, 4, 3212836864
	.section	.AMDGPU.gpr_maximums,"",@progbits
	.set amdgpu.max_num_vgpr, 0
	.set amdgpu.max_num_agpr, 0
	.set amdgpu.max_num_sgpr, 0
	.text
	.type	__hip_cuid_5b3360ab9aeb5805,@object ; @__hip_cuid_5b3360ab9aeb5805
	.section	.bss,"aw",@nobits
	.globl	__hip_cuid_5b3360ab9aeb5805
__hip_cuid_5b3360ab9aeb5805:
	.byte	0                               ; 0x0
	.size	__hip_cuid_5b3360ab9aeb5805, 1

	.ident	"AMD clang version 22.0.0git (https://github.com/RadeonOpenCompute/llvm-project roc-7.2.4 26084 f58b06dce1f9c15707c5f808fd002e18c2accf7e)"
	.section	".note.GNU-stack","",@progbits
	.addrsig
	.addrsig_sym __hip_cuid_5b3360ab9aeb5805
	.amdgpu_metadata
---
amdhsa.kernels:
  - .agpr_count:     0
    .args:
      - .address_space:  global
        .offset:         0
        .size:           8
        .value_kind:     global_buffer
      - .address_space:  global
        .offset:         8
        .size:           8
        .value_kind:     global_buffer
      - .address_space:  global
        .offset:         16
        .size:           8
        .value_kind:     global_buffer
    .group_segment_fixed_size: 0
    .kernarg_segment_align: 8
    .kernarg_segment_size: 24
    .language:       OpenCL C
    .language_version:
      - 2
      - 0
    .max_flat_workgroup_size: 1024
    .name:           _Z10PingKernelPmS_S_
    .private_segment_fixed_size: 0
    .sgpr_count:     18
    .sgpr_spill_count: 0
    .symbol:         _Z10PingKernelPmS_S_.kd
    .uniform_work_group_size: 1
    .uses_dynamic_stack: false
    .vgpr_count:     4
    .vgpr_spill_count: 0
    .wavefront_size: 64
  - .agpr_count:     0
    .args:
      - .address_space:  global
        .offset:         0
        .size:           8
        .value_kind:     global_buffer
      - .address_space:  global
        .offset:         8
        .size:           8
        .value_kind:     global_buffer
      - .address_space:  global
        .offset:         16
        .size:           8
        .value_kind:     global_buffer
    .group_segment_fixed_size: 0
    .kernarg_segment_align: 8
    .kernarg_segment_size: 24
    .language:       OpenCL C
    .language_version:
      - 2
      - 0
    .max_flat_workgroup_size: 1024
    .name:           _Z10PongKernelPmS_S_
    .private_segment_fixed_size: 0
    .sgpr_count:     18
    .sgpr_spill_count: 0
    .symbol:         _Z10PongKernelPmS_S_.kd
    .uniform_work_group_size: 1
    .uses_dynamic_stack: false
    .vgpr_count:     4
    .vgpr_spill_count: 0
    .wavefront_size: 64
amdhsa.target:   amdgcn-amd-amdhsa--gfx950
amdhsa.version:
  - 1
  - 2
...

	.end_amdgpu_metadata
